;; amdgpu-corpus repo=ROCm/rocFFT kind=compiled arch=gfx906 opt=O3
	.text
	.amdgcn_target "amdgcn-amd-amdhsa--gfx906"
	.amdhsa_code_object_version 6
	.protected	bluestein_single_back_len924_dim1_half_op_CI_CI ; -- Begin function bluestein_single_back_len924_dim1_half_op_CI_CI
	.globl	bluestein_single_back_len924_dim1_half_op_CI_CI
	.p2align	8
	.type	bluestein_single_back_len924_dim1_half_op_CI_CI,@function
bluestein_single_back_len924_dim1_half_op_CI_CI: ; @bluestein_single_back_len924_dim1_half_op_CI_CI
; %bb.0:
	s_load_dwordx4 s[12:15], s[4:5], 0x28
	v_mul_u32_u24_e32 v1, 0x5d2, v0
	v_add_u32_sdwa v30, s6, v1 dst_sel:DWORD dst_unused:UNUSED_PAD src0_sel:DWORD src1_sel:WORD_1
	v_mov_b32_e32 v31, 0
	s_waitcnt lgkmcnt(0)
	v_cmp_gt_u64_e32 vcc, s[12:13], v[30:31]
	s_and_saveexec_b64 s[0:1], vcc
	s_cbranch_execz .LBB0_31
; %bb.1:
	s_load_dwordx4 s[0:3], s[4:5], 0x18
	s_load_dwordx2 s[12:13], s[4:5], 0x0
	v_mov_b32_e32 v2, 44
	v_mul_lo_u16_sdwa v1, v1, v2 dst_sel:DWORD dst_unused:UNUSED_PAD src0_sel:WORD_1 src1_sel:DWORD
	v_sub_u16_e32 v83, v0, v1
	s_waitcnt lgkmcnt(0)
	s_load_dwordx4 s[8:11], s[0:1], 0x0
	v_lshlrev_b32_e32 v63, 2, v83
	global_load_dword v84, v63, s[12:13]
	v_mov_b32_e32 v10, s13
	v_add_u32_e32 v18, 0xc00, v63
	s_waitcnt lgkmcnt(0)
	v_mad_u64_u32 v[0:1], s[0:1], s10, v30, 0
	v_mad_u64_u32 v[2:3], s[0:1], s8, v83, 0
	v_mad_u64_u32 v[4:5], s[0:1], s11, v30, v[1:2]
	v_mad_u64_u32 v[5:6], s[0:1], s9, v83, v[3:4]
	v_mov_b32_e32 v1, v4
	v_lshlrev_b64 v[0:1], 2, v[0:1]
	v_mov_b32_e32 v6, s15
	v_mov_b32_e32 v3, v5
	v_add_co_u32_e32 v4, vcc, s14, v0
	v_addc_co_u32_e32 v5, vcc, v6, v1, vcc
	v_lshlrev_b64 v[0:1], 2, v[2:3]
	s_mul_i32 s0, s9, 0x1ce
	s_mul_hi_u32 s1, s8, 0x1ce
	v_add_co_u32_e32 v0, vcc, v4, v0
	s_add_i32 s1, s1, s0
	s_mul_i32 s0, s8, 0x1ce
	v_addc_co_u32_e32 v1, vcc, v5, v1, vcc
	s_lshl_b64 s[14:15], s[0:1], 2
	s_mul_hi_u32 s1, s8, 0xfffffe5e
	v_mov_b32_e32 v4, s15
	v_add_co_u32_e32 v2, vcc, s14, v0
	s_mul_i32 s0, s9, 0xfffffe5e
	s_sub_i32 s1, s1, s8
	v_addc_co_u32_e32 v3, vcc, v1, v4, vcc
	global_load_dword v5, v[0:1], off
	global_load_dword v6, v[2:3], off
	global_load_dword v82, v63, s[12:13] offset:1848
	s_add_i32 s1, s1, s0
	s_mul_i32 s0, s8, 0xfffffe5e
	s_lshl_b64 s[16:17], s[0:1], 2
	v_mov_b32_e32 v7, s17
	v_add_co_u32_e32 v0, vcc, s16, v2
	v_addc_co_u32_e32 v1, vcc, v3, v7, vcc
	global_load_dword v2, v[0:1], off
	global_load_dword v81, v63, s[12:13] offset:176
	v_add_co_u32_e32 v0, vcc, s14, v0
	v_addc_co_u32_e32 v1, vcc, v1, v4, vcc
	global_load_dword v3, v[0:1], off
	global_load_dword v80, v63, s[12:13] offset:2024
	;; [unrolled: 4-line block ×4, first 2 shown]
	v_add_co_u32_e32 v0, vcc, s16, v0
	v_addc_co_u32_e32 v1, vcc, v1, v7, vcc
	s_load_dwordx2 s[6:7], s[4:5], 0x38
	s_load_dwordx4 s[8:11], s[2:3], 0x0
	global_load_dword v76, v63, s[12:13] offset:2376
	global_load_dword v74, v63, s[12:13] offset:2552
	;; [unrolled: 1-line block ×3, first 2 shown]
	global_load_dword v11, v[0:1], off
	global_load_dword v77, v63, s[12:13] offset:528
	global_load_dword v75, v63, s[12:13] offset:704
	;; [unrolled: 1-line block ×7, first 2 shown]
	v_add_co_u32_e32 v28, vcc, s12, v63
	v_addc_co_u32_e32 v29, vcc, 0, v10, vcc
	v_add_co_u32_e32 v0, vcc, s14, v0
	v_addc_co_u32_e32 v1, vcc, v1, v4, vcc
	v_cmp_gt_u16_e64 s[0:1], 22, v83
	s_waitcnt vmcnt(21)
	v_lshrrev_b32_e32 v10, 16, v5
	v_mul_f16_sdwa v12, v84, v5 dst_sel:DWORD dst_unused:UNUSED_PAD src0_sel:WORD_1 src1_sel:DWORD
	v_mul_f16_sdwa v13, v84, v10 dst_sel:DWORD dst_unused:UNUSED_PAD src0_sel:WORD_1 src1_sel:DWORD
	v_fma_f16 v10, v84, v10, -v12
	s_waitcnt vmcnt(20)
	v_lshrrev_b32_e32 v12, 16, v6
	s_waitcnt vmcnt(19)
	v_mul_f16_sdwa v14, v82, v6 dst_sel:DWORD dst_unused:UNUSED_PAD src0_sel:WORD_1 src1_sel:DWORD
	v_fma_f16 v5, v84, v5, v13
	v_mul_f16_sdwa v13, v82, v12 dst_sel:DWORD dst_unused:UNUSED_PAD src0_sel:WORD_1 src1_sel:DWORD
	v_fma_f16 v12, v82, v12, -v14
	v_fma_f16 v6, v82, v6, v13
	v_pack_b32_f16 v6, v6, v12
	ds_write_b32 v63, v6 offset:1848
	s_waitcnt vmcnt(18)
	v_lshrrev_b32_e32 v6, 16, v2
	v_pack_b32_f16 v5, v5, v10
	s_waitcnt vmcnt(17)
	v_mul_f16_sdwa v10, v81, v6 dst_sel:DWORD dst_unused:UNUSED_PAD src0_sel:WORD_1 src1_sel:DWORD
	v_fma_f16 v10, v81, v2, v10
	v_mul_f16_sdwa v2, v81, v2 dst_sel:DWORD dst_unused:UNUSED_PAD src0_sel:WORD_1 src1_sel:DWORD
	v_fma_f16 v2, v81, v6, -v2
	v_pack_b32_f16 v2, v10, v2
	ds_write2_b32 v63, v5, v2 offset1:44
	s_waitcnt vmcnt(16)
	v_lshrrev_b32_e32 v2, 16, v3
	s_waitcnt vmcnt(15)
	v_mul_f16_sdwa v6, v80, v2 dst_sel:DWORD dst_unused:UNUSED_PAD src0_sel:WORD_1 src1_sel:DWORD
	global_load_dword v5, v[0:1], off
	v_fma_f16 v6, v80, v3, v6
	v_mul_f16_sdwa v3, v80, v3 dst_sel:DWORD dst_unused:UNUSED_PAD src0_sel:WORD_1 src1_sel:DWORD
	v_fma_f16 v2, v80, v2, -v3
	s_waitcnt vmcnt(15)
	v_lshrrev_b32_e32 v3, 16, v8
	v_pack_b32_f16 v2, v6, v2
	s_waitcnt vmcnt(14)
	v_mul_f16_sdwa v6, v79, v3 dst_sel:DWORD dst_unused:UNUSED_PAD src0_sel:WORD_1 src1_sel:DWORD
	v_add_co_u32_e32 v0, vcc, s16, v0
	v_fma_f16 v6, v79, v8, v6
	v_mul_f16_sdwa v8, v79, v8 dst_sel:DWORD dst_unused:UNUSED_PAD src0_sel:WORD_1 src1_sel:DWORD
	v_addc_co_u32_e32 v1, vcc, v1, v7, vcc
	v_fma_f16 v3, v79, v3, -v8
	global_load_dword v8, v[0:1], off
	v_add_co_u32_e32 v0, vcc, s14, v0
	v_addc_co_u32_e32 v1, vcc, v1, v4, vcc
	global_load_dword v12, v[0:1], off
	v_pack_b32_f16 v3, v6, v3
	s_waitcnt vmcnt(15)
	v_lshrrev_b32_e32 v6, 16, v9
	s_waitcnt vmcnt(14)
	v_mul_f16_sdwa v10, v78, v6 dst_sel:DWORD dst_unused:UNUSED_PAD src0_sel:WORD_1 src1_sel:DWORD
	v_add_co_u32_e32 v0, vcc, s16, v0
	v_fma_f16 v10, v78, v9, v10
	v_mul_f16_sdwa v9, v78, v9 dst_sel:DWORD dst_unused:UNUSED_PAD src0_sel:WORD_1 src1_sel:DWORD
	v_addc_co_u32_e32 v1, vcc, v1, v7, vcc
	v_fma_f16 v6, v78, v6, -v9
	global_load_dword v9, v[0:1], off
	v_add_co_u32_e32 v0, vcc, s14, v0
	v_addc_co_u32_e32 v1, vcc, v1, v4, vcc
	global_load_dword v13, v[0:1], off
	v_add_co_u32_e32 v0, vcc, s16, v0
	v_pack_b32_f16 v6, v10, v6
	v_add_u32_e32 v10, 0x600, v63
	v_addc_co_u32_e32 v1, vcc, v1, v7, vcc
	ds_write2_b32 v10, v2, v6 offset0:122 offset1:166
	global_load_dword v6, v[0:1], off
	v_add_co_u32_e32 v0, vcc, s14, v0
	v_addc_co_u32_e32 v1, vcc, v1, v4, vcc
	global_load_dword v10, v[0:1], off
	global_load_dword v71, v63, s[12:13] offset:2904
	v_add_co_u32_e32 v0, vcc, s16, v0
	v_addc_co_u32_e32 v1, vcc, v1, v7, vcc
	global_load_dword v15, v[0:1], off
	s_waitcnt vmcnt(16)
	v_lshrrev_b32_e32 v2, 16, v11
	s_waitcnt vmcnt(15)
	v_mul_f16_sdwa v14, v77, v2 dst_sel:DWORD dst_unused:UNUSED_PAD src0_sel:WORD_1 src1_sel:DWORD
	v_add_co_u32_e32 v0, vcc, s14, v0
	v_fma_f16 v14, v77, v11, v14
	v_mul_f16_sdwa v11, v77, v11 dst_sel:DWORD dst_unused:UNUSED_PAD src0_sel:WORD_1 src1_sel:DWORD
	v_addc_co_u32_e32 v1, vcc, v1, v4, vcc
	v_fma_f16 v2, v77, v2, -v11
	global_load_dword v11, v[0:1], off
	global_load_dword v69, v63, s[12:13] offset:3080
	v_add_co_u32_e32 v0, vcc, s16, v0
	v_addc_co_u32_e32 v1, vcc, v1, v7, vcc
	global_load_dword v16, v[0:1], off
	v_add_co_u32_e32 v0, vcc, s14, v0
	v_addc_co_u32_e32 v1, vcc, v1, v4, vcc
	v_pack_b32_f16 v2, v14, v2
	global_load_dword v14, v[0:1], off
	global_load_dword v66, v63, s[12:13] offset:3256
	v_add_co_u32_e32 v0, vcc, s16, v0
	v_addc_co_u32_e32 v1, vcc, v1, v7, vcc
	global_load_dword v7, v[0:1], off
	v_add_co_u32_e32 v0, vcc, s14, v0
	ds_write2_b32 v63, v3, v2 offset0:88 offset1:132
	v_addc_co_u32_e32 v1, vcc, v1, v4, vcc
	global_load_dword v4, v[0:1], off
	global_load_dword v64, v63, s[12:13] offset:3432
	s_waitcnt vmcnt(16)
	v_lshrrev_b32_e32 v2, 16, v5
	v_mul_f16_sdwa v3, v76, v2 dst_sel:DWORD dst_unused:UNUSED_PAD src0_sel:WORD_1 src1_sel:DWORD
	v_fma_f16 v3, v76, v5, v3
	v_mul_f16_sdwa v5, v76, v5 dst_sel:DWORD dst_unused:UNUSED_PAD src0_sel:WORD_1 src1_sel:DWORD
	v_fma_f16 v2, v76, v2, -v5
	v_pack_b32_f16 v3, v3, v2
	s_waitcnt vmcnt(15)
	v_lshrrev_b32_e32 v2, 16, v8
	v_mul_f16_sdwa v5, v75, v2 dst_sel:DWORD dst_unused:UNUSED_PAD src0_sel:WORD_1 src1_sel:DWORD
	v_fma_f16 v5, v75, v8, v5
	v_mul_f16_sdwa v8, v75, v8 dst_sel:DWORD dst_unused:UNUSED_PAD src0_sel:WORD_1 src1_sel:DWORD
	v_fma_f16 v2, v75, v2, -v8
	v_pack_b32_f16 v5, v5, v2
	;; [unrolled: 7-line block ×3, first 2 shown]
	v_add_u32_e32 v2, 0x800, v63
	ds_write2_b32 v2, v3, v8 offset0:82 offset1:126
	s_waitcnt vmcnt(13)
	v_lshrrev_b32_e32 v3, 16, v9
	v_mul_f16_sdwa v8, v73, v3 dst_sel:DWORD dst_unused:UNUSED_PAD src0_sel:WORD_1 src1_sel:DWORD
	v_fma_f16 v8, v73, v9, v8
	v_mul_f16_sdwa v9, v73, v9 dst_sel:DWORD dst_unused:UNUSED_PAD src0_sel:WORD_1 src1_sel:DWORD
	v_fma_f16 v3, v73, v3, -v9
	v_pack_b32_f16 v3, v8, v3
	ds_write2_b32 v63, v5, v3 offset0:176 offset1:220
	s_waitcnt vmcnt(12)
	v_lshrrev_b32_e32 v3, 16, v13
	v_mul_f16_sdwa v5, v72, v3 dst_sel:DWORD dst_unused:UNUSED_PAD src0_sel:WORD_1 src1_sel:DWORD
	v_mul_f16_sdwa v8, v72, v13 dst_sel:DWORD dst_unused:UNUSED_PAD src0_sel:WORD_1 src1_sel:DWORD
	v_fma_f16 v5, v72, v13, v5
	v_fma_f16 v3, v72, v3, -v8
	v_pack_b32_f16 v3, v5, v3
	s_waitcnt vmcnt(11)
	v_lshrrev_b32_e32 v5, 16, v6
	v_mul_f16_sdwa v8, v70, v5 dst_sel:DWORD dst_unused:UNUSED_PAD src0_sel:WORD_1 src1_sel:DWORD
	v_fma_f16 v8, v70, v6, v8
	v_mul_f16_sdwa v6, v70, v6 dst_sel:DWORD dst_unused:UNUSED_PAD src0_sel:WORD_1 src1_sel:DWORD
	v_fma_f16 v5, v70, v5, -v6
	s_waitcnt vmcnt(10)
	v_lshrrev_b32_e32 v6, 16, v10
	v_pack_b32_f16 v5, v8, v5
	s_waitcnt vmcnt(9)
	v_mul_f16_sdwa v8, v71, v6 dst_sel:DWORD dst_unused:UNUSED_PAD src0_sel:WORD_1 src1_sel:DWORD
	v_mul_f16_sdwa v9, v71, v10 dst_sel:DWORD dst_unused:UNUSED_PAD src0_sel:WORD_1 src1_sel:DWORD
	v_fma_f16 v8, v71, v10, v8
	v_fma_f16 v6, v71, v6, -v9
	v_pack_b32_f16 v6, v8, v6
	ds_write2_b32 v2, v3, v6 offset0:170 offset1:214
	s_waitcnt vmcnt(8)
	v_lshrrev_b32_e32 v3, 16, v15
	v_mul_f16_sdwa v6, v68, v3 dst_sel:DWORD dst_unused:UNUSED_PAD src0_sel:WORD_1 src1_sel:DWORD
	v_mul_f16_sdwa v8, v68, v15 dst_sel:DWORD dst_unused:UNUSED_PAD src0_sel:WORD_1 src1_sel:DWORD
	v_fma_f16 v6, v68, v15, v6
	v_fma_f16 v3, v68, v3, -v8
	v_pack_b32_f16 v6, v6, v3
	v_add_u32_e32 v3, 0x400, v63
	ds_write2_b32 v3, v5, v6 offset0:8 offset1:52
	s_waitcnt vmcnt(7)
	v_lshrrev_b32_e32 v5, 16, v11
	s_waitcnt vmcnt(6)
	v_mul_f16_sdwa v6, v69, v5 dst_sel:DWORD dst_unused:UNUSED_PAD src0_sel:WORD_1 src1_sel:DWORD
	v_mul_f16_sdwa v8, v69, v11 dst_sel:DWORD dst_unused:UNUSED_PAD src0_sel:WORD_1 src1_sel:DWORD
	v_fma_f16 v6, v69, v11, v6
	v_fma_f16 v5, v69, v5, -v8
	v_pack_b32_f16 v5, v6, v5
	s_waitcnt vmcnt(5)
	v_lshrrev_b32_e32 v6, 16, v16
	v_mul_f16_sdwa v8, v67, v6 dst_sel:DWORD dst_unused:UNUSED_PAD src0_sel:WORD_1 src1_sel:DWORD
	v_mul_f16_sdwa v9, v67, v16 dst_sel:DWORD dst_unused:UNUSED_PAD src0_sel:WORD_1 src1_sel:DWORD
	v_fma_f16 v8, v67, v16, v8
	v_fma_f16 v6, v67, v6, -v9
	v_pack_b32_f16 v6, v8, v6
	s_waitcnt vmcnt(4)
	v_lshrrev_b32_e32 v8, 16, v14
	s_waitcnt vmcnt(3)
	v_mul_f16_sdwa v9, v66, v8 dst_sel:DWORD dst_unused:UNUSED_PAD src0_sel:WORD_1 src1_sel:DWORD
	v_mul_f16_sdwa v10, v66, v14 dst_sel:DWORD dst_unused:UNUSED_PAD src0_sel:WORD_1 src1_sel:DWORD
	v_fma_f16 v9, v66, v14, v9
	v_fma_f16 v8, v66, v8, -v10
	v_pack_b32_f16 v8, v9, v8
	ds_write2_b32 v18, v5, v8 offset0:2 offset1:46
	s_waitcnt vmcnt(2)
	v_lshrrev_b32_e32 v5, 16, v7
	v_mul_f16_sdwa v8, v65, v5 dst_sel:DWORD dst_unused:UNUSED_PAD src0_sel:WORD_1 src1_sel:DWORD
	v_fma_f16 v8, v65, v7, v8
	v_mul_f16_sdwa v7, v65, v7 dst_sel:DWORD dst_unused:UNUSED_PAD src0_sel:WORD_1 src1_sel:DWORD
	v_fma_f16 v5, v65, v5, -v7
	v_pack_b32_f16 v5, v8, v5
	ds_write2_b32 v3, v6, v5 offset0:96 offset1:140
	s_waitcnt vmcnt(1)
	v_lshrrev_b32_e32 v5, 16, v4
	s_waitcnt vmcnt(0)
	v_mul_f16_sdwa v6, v64, v5 dst_sel:DWORD dst_unused:UNUSED_PAD src0_sel:WORD_1 src1_sel:DWORD
	v_fma_f16 v6, v64, v4, v6
	v_mul_f16_sdwa v4, v64, v4 dst_sel:DWORD dst_unused:UNUSED_PAD src0_sel:WORD_1 src1_sel:DWORD
	v_fma_f16 v4, v64, v5, -v4
	v_pack_b32_f16 v4, v6, v4
	ds_write_b32 v63, v4 offset:3432
	s_and_saveexec_b64 s[2:3], s[0:1]
	s_cbranch_execz .LBB0_3
; %bb.2:
	v_mov_b32_e32 v4, s17
	v_add_co_u32_e32 v0, vcc, s16, v0
	v_addc_co_u32_e32 v1, vcc, v1, v4, vcc
	global_load_dword v4, v[0:1], off
	global_load_dword v5, v[28:29], off offset:1760
	v_mov_b32_e32 v6, s15
	v_add_co_u32_e32 v0, vcc, s14, v0
	v_addc_co_u32_e32 v1, vcc, v1, v6, vcc
	global_load_dword v6, v[0:1], off
	global_load_dword v7, v[28:29], off offset:3608
	s_waitcnt vmcnt(3)
	v_lshrrev_b32_e32 v0, 16, v4
	s_waitcnt vmcnt(2)
	v_mul_f16_sdwa v1, v5, v4 dst_sel:DWORD dst_unused:UNUSED_PAD src0_sel:WORD_1 src1_sel:DWORD
	v_mul_f16_sdwa v8, v5, v0 dst_sel:DWORD dst_unused:UNUSED_PAD src0_sel:WORD_1 src1_sel:DWORD
	v_fma_f16 v0, v5, v0, -v1
	v_fma_f16 v4, v5, v4, v8
	v_pack_b32_f16 v0, v4, v0
	s_waitcnt vmcnt(1)
	v_lshrrev_b32_e32 v1, 16, v6
	s_waitcnt vmcnt(0)
	v_mul_f16_sdwa v9, v7, v6 dst_sel:DWORD dst_unused:UNUSED_PAD src0_sel:WORD_1 src1_sel:DWORD
	v_mul_f16_sdwa v5, v7, v1 dst_sel:DWORD dst_unused:UNUSED_PAD src0_sel:WORD_1 src1_sel:DWORD
	v_fma_f16 v1, v7, v1, -v9
	v_fma_f16 v4, v7, v6, v5
	ds_write_b32 v63, v0 offset:1760
	v_pack_b32_f16 v0, v4, v1
	ds_write_b32 v63, v0 offset:3608
.LBB0_3:
	s_or_b64 exec, exec, s[2:3]
	s_waitcnt lgkmcnt(0)
	; wave barrier
	s_waitcnt lgkmcnt(0)
	ds_read2_b32 v[10:11], v63 offset1:44
	ds_read2_b32 v[0:1], v3 offset0:206 offset1:250
	ds_read2_b32 v[8:9], v63 offset0:88 offset1:132
	;; [unrolled: 1-line block ×6, first 2 shown]
	v_add_u32_e32 v2, 0xa00, v63
	ds_read2_b32 v[16:17], v2 offset0:86 offset1:130
	ds_read2_b32 v[2:3], v3 offset0:96 offset1:140
	;; [unrolled: 1-line block ×3, first 2 shown]
                                        ; implicit-def: $vgpr20
                                        ; implicit-def: $vgpr21
	s_and_saveexec_b64 s[2:3], s[0:1]
	s_cbranch_execz .LBB0_5
; %bb.4:
	ds_read_b32 v20, v63 offset:1760
	ds_read_b32 v21, v63 offset:3608
.LBB0_5:
	s_or_b64 exec, exec, s[2:3]
	s_waitcnt lgkmcnt(8)
	v_pk_add_f16 v34, v10, v0 neg_lo:[0,1] neg_hi:[0,1]
	v_add_co_u32_e32 v31, vcc, 44, v83
	v_add_co_u32_e32 v22, vcc, 0x58, v83
	v_pk_add_f16 v35, v11, v1 neg_lo:[0,1] neg_hi:[0,1]
	s_waitcnt lgkmcnt(6)
	v_pk_add_f16 v12, v8, v12 neg_lo:[0,1] neg_hi:[0,1]
	v_lshlrev_b32_e32 v87, 3, v83
	v_pk_fma_f16 v33, v10, 2.0, v34 op_sel_hi:[1,0,1] neg_lo:[0,0,1] neg_hi:[0,0,1]
	s_load_dwordx2 s[2:3], s[4:5], 0x8
	v_add_co_u32_e32 v26, vcc, 0x84, v83
	s_movk_i32 s4, 0xb0
	v_pk_add_f16 v13, v9, v13 neg_lo:[0,1] neg_hi:[0,1]
	s_waitcnt lgkmcnt(0)
	; wave barrier
	s_waitcnt lgkmcnt(0)
	ds_write_b64 v87, v[33:34]
	v_lshlrev_b32_e32 v88, 3, v31
	v_pk_fma_f16 v34, v11, 2.0, v35 op_sel_hi:[1,0,1] neg_lo:[0,0,1] neg_hi:[0,0,1]
	v_lshlrev_b32_e32 v89, 3, v22
	v_pk_fma_f16 v11, v8, 2.0, v12 op_sel_hi:[1,0,1] neg_lo:[0,0,1] neg_hi:[0,0,1]
	v_add_co_u32_e32 v25, vcc, s4, v83
	s_movk_i32 s4, 0xdc
	v_pk_add_f16 v14, v6, v14 neg_lo:[0,1] neg_hi:[0,1]
	ds_write_b64 v88, v[34:35]
	ds_write_b64 v89, v[11:12]
	v_lshlrev_b32_e32 v90, 3, v26
	v_pk_fma_f16 v12, v9, 2.0, v13 op_sel_hi:[1,0,1] neg_lo:[0,0,1] neg_hi:[0,0,1]
	v_add_co_u32_e32 v24, vcc, s4, v83
	s_movk_i32 s4, 0x108
	v_pk_add_f16 v15, v7, v15 neg_lo:[0,1] neg_hi:[0,1]
	ds_write_b64 v90, v[12:13]
	v_lshlrev_b32_e32 v91, 3, v25
	v_pk_fma_f16 v13, v6, 2.0, v14 op_sel_hi:[1,0,1] neg_lo:[0,0,1] neg_hi:[0,0,1]
	v_add_co_u32_e32 v23, vcc, s4, v83
	v_lshlrev_b32_e32 v32, 1, v83
	v_pk_add_f16 v16, v4, v16 neg_lo:[0,1] neg_hi:[0,1]
	ds_write_b64 v91, v[13:14]
	v_lshlrev_b32_e32 v93, 3, v24
	v_pk_fma_f16 v14, v7, 2.0, v15 op_sel_hi:[1,0,1] neg_lo:[0,0,1] neg_hi:[0,0,1]
	s_movk_i32 s4, 0x1b8
	v_pk_add_f16 v17, v5, v17 neg_lo:[0,1] neg_hi:[0,1]
	v_pk_add_f16 v40, v2, v18 neg_lo:[0,1] neg_hi:[0,1]
	ds_write_b64 v93, v[14:15]
	v_lshlrev_b32_e32 v94, 3, v23
	v_pk_fma_f16 v15, v4, 2.0, v16 op_sel_hi:[1,0,1] neg_lo:[0,0,1] neg_hi:[0,0,1]
	v_lshlrev_b32_e32 v4, 2, v32
	v_add_co_u32_e32 v27, vcc, s4, v83
	v_pk_add_f16 v18, v3, v19 neg_lo:[0,1] neg_hi:[0,1]
	v_pk_add_f16 v1, v20, v21 neg_lo:[0,1] neg_hi:[0,1]
	ds_write_b64 v94, v[15:16]
	v_pk_fma_f16 v16, v5, 2.0, v17 op_sel_hi:[1,0,1] neg_lo:[0,0,1] neg_hi:[0,0,1]
	v_pk_fma_f16 v39, v2, 2.0, v40 op_sel_hi:[1,0,1] neg_lo:[0,0,1] neg_hi:[0,0,1]
	v_add_u32_e32 v2, 0x800, v4
	v_pk_fma_f16 v0, v20, 2.0, v1 op_sel_hi:[1,0,1] neg_lo:[0,0,1] neg_hi:[0,0,1]
	v_lshlrev_b32_e32 v33, 1, v31
	v_lshlrev_b32_e32 v34, 1, v22
	;; [unrolled: 1-line block ×6, first 2 shown]
	v_add_u32_e32 v101, 0x268, v32
	v_add_u32_e32 v104, 0x2c0, v32
	ds_write2_b64 v2, v[16:17], v[39:40] offset0:52 offset1:96
	v_add_u32_e32 v108, 0x318, v32
	v_pk_fma_f16 v17, v3, 2.0, v18 op_sel_hi:[1,0,1] neg_lo:[0,0,1] neg_hi:[0,0,1]
	v_lshlrev_b32_e32 v92, 3, v27
	ds_write_b64 v4, v[17:18] offset:3168
	s_and_saveexec_b64 s[4:5], s[0:1]
	s_cbranch_execz .LBB0_7
; %bb.6:
	ds_write_b64 v92, v[0:1]
.LBB0_7:
	s_or_b64 exec, exec, s[4:5]
	v_add_u32_e32 v2, 0x400, v63
	v_add_u32_e32 v3, 0x800, v63
	s_waitcnt lgkmcnt(0)
	; wave barrier
	s_waitcnt lgkmcnt(0)
	ds_read2_b32 v[6:7], v63 offset1:44
	ds_read2_b32 v[12:13], v2 offset0:206 offset1:250
	ds_read2_b32 v[10:11], v63 offset0:88 offset1:132
	;; [unrolled: 1-line block ×6, first 2 shown]
	v_add_u32_e32 v3, 0xa00, v63
	v_add_u32_e32 v20, 0xc00, v63
	ds_read2_b32 v[18:19], v3 offset0:86 offset1:130
	ds_read2_b32 v[2:3], v2 offset0:96 offset1:140
	;; [unrolled: 1-line block ×3, first 2 shown]
	s_and_saveexec_b64 s[4:5], s[0:1]
	s_cbranch_execz .LBB0_9
; %bb.8:
	ds_read_b32 v0, v63 offset:1760
	ds_read_b32 v1, v63 offset:3608
.LBB0_9:
	s_or_b64 exec, exec, s[4:5]
	v_and_b32_e32 v85, 1, v83
	v_lshlrev_b32_e32 v39, 2, v85
	global_load_dword v86, v39, s[2:3]
	s_waitcnt lgkmcnt(8)
	v_lshrrev_b32_e32 v40, 16, v12
	v_lshrrev_b32_e32 v39, 16, v6
	;; [unrolled: 1-line block ×3, first 2 shown]
	s_movk_i32 s4, 0x7c
	v_lshrrev_b32_e32 v41, 16, v7
	s_waitcnt lgkmcnt(6)
	v_lshrrev_b32_e32 v44, 16, v14
	v_and_or_b32 v32, v32, s4, v85
	s_movk_i32 s4, 0xfc
	v_lshrrev_b32_e32 v43, 16, v10
	v_lshrrev_b32_e32 v46, 16, v15
	s_waitcnt lgkmcnt(0)
	; wave barrier
	s_waitcnt lgkmcnt(0)
	v_lshrrev_b32_e32 v45, 16, v11
	v_lshrrev_b32_e32 v48, 16, v16
	v_lshrrev_b32_e32 v47, 16, v8
	v_lshrrev_b32_e32 v50, 16, v17
	v_lshrrev_b32_e32 v49, 16, v9
	v_lshrrev_b32_e32 v52, 16, v18
	s_movk_i32 s14, 0x3fc
	v_lshrrev_b32_e32 v51, 16, v4
	v_lshrrev_b32_e32 v54, 16, v19
	;; [unrolled: 1-line block ×8, first 2 shown]
	s_waitcnt vmcnt(0)
	v_mul_f16_sdwa v60, v40, v86 dst_sel:DWORD dst_unused:UNUSED_PAD src0_sel:DWORD src1_sel:WORD_1
	v_mul_f16_sdwa v61, v12, v86 dst_sel:DWORD dst_unused:UNUSED_PAD src0_sel:DWORD src1_sel:WORD_1
	v_fma_f16 v12, v12, v86, -v60
	v_fma_f16 v40, v40, v86, v61
	v_mul_f16_sdwa v62, v42, v86 dst_sel:DWORD dst_unused:UNUSED_PAD src0_sel:DWORD src1_sel:WORD_1
	v_mul_f16_sdwa v95, v13, v86 dst_sel:DWORD dst_unused:UNUSED_PAD src0_sel:DWORD src1_sel:WORD_1
	v_sub_f16_e32 v12, v6, v12
	v_sub_f16_e32 v40, v39, v40
	v_fma_f16 v13, v13, v86, -v62
	v_fma_f16 v42, v42, v86, v95
	v_fma_f16 v6, v6, 2.0, -v12
	v_fma_f16 v39, v39, 2.0, -v40
	v_mul_f16_sdwa v96, v44, v86 dst_sel:DWORD dst_unused:UNUSED_PAD src0_sel:DWORD src1_sel:WORD_1
	v_mul_f16_sdwa v97, v14, v86 dst_sel:DWORD dst_unused:UNUSED_PAD src0_sel:DWORD src1_sel:WORD_1
	v_sub_f16_e32 v13, v7, v13
	v_sub_f16_e32 v42, v41, v42
	v_lshlrev_b32_e32 v95, 2, v32
	v_pack_b32_f16 v6, v6, v39
	v_pack_b32_f16 v12, v12, v40
	v_fma_f16 v14, v14, v86, -v96
	v_fma_f16 v44, v44, v86, v97
	v_fma_f16 v7, v7, 2.0, -v13
	v_fma_f16 v41, v41, 2.0, -v42
	ds_write2_b32 v95, v6, v12 offset1:2
	v_and_or_b32 v6, v33, s4, v85
	v_mul_f16_sdwa v98, v46, v86 dst_sel:DWORD dst_unused:UNUSED_PAD src0_sel:DWORD src1_sel:WORD_1
	v_mul_f16_sdwa v99, v15, v86 dst_sel:DWORD dst_unused:UNUSED_PAD src0_sel:DWORD src1_sel:WORD_1
	v_sub_f16_e32 v14, v10, v14
	v_sub_f16_e32 v44, v43, v44
	v_lshlrev_b32_e32 v96, 2, v6
	v_pack_b32_f16 v6, v7, v41
	v_pack_b32_f16 v7, v13, v42
	s_movk_i32 s4, 0x1fc
	v_fma_f16 v15, v15, v86, -v98
	v_fma_f16 v46, v46, v86, v99
	v_fma_f16 v10, v10, 2.0, -v14
	v_fma_f16 v43, v43, 2.0, -v44
	ds_write2_b32 v96, v6, v7 offset1:2
	v_and_or_b32 v6, v34, s4, v85
	v_mul_f16_sdwa v100, v48, v86 dst_sel:DWORD dst_unused:UNUSED_PAD src0_sel:DWORD src1_sel:WORD_1
	v_mul_f16_sdwa v102, v16, v86 dst_sel:DWORD dst_unused:UNUSED_PAD src0_sel:DWORD src1_sel:WORD_1
	v_sub_f16_e32 v15, v11, v15
	v_sub_f16_e32 v46, v45, v46
	v_lshlrev_b32_e32 v97, 2, v6
	v_pack_b32_f16 v6, v10, v43
	v_pack_b32_f16 v7, v14, v44
	v_fma_f16 v16, v16, v86, -v100
	v_fma_f16 v48, v48, v86, v102
	v_fma_f16 v11, v11, 2.0, -v15
	v_fma_f16 v45, v45, 2.0, -v46
	ds_write2_b32 v97, v6, v7 offset1:2
	v_and_or_b32 v6, v35, s4, v85
	v_mul_f16_sdwa v103, v50, v86 dst_sel:DWORD dst_unused:UNUSED_PAD src0_sel:DWORD src1_sel:WORD_1
	v_mul_f16_sdwa v105, v17, v86 dst_sel:DWORD dst_unused:UNUSED_PAD src0_sel:DWORD src1_sel:WORD_1
	v_sub_f16_e32 v16, v8, v16
	v_sub_f16_e32 v48, v47, v48
	v_lshlrev_b32_e32 v98, 2, v6
	v_pack_b32_f16 v6, v11, v45
	v_pack_b32_f16 v7, v15, v46
	;; [unrolled: 13-line block ×4, first 2 shown]
	s_movk_i32 s4, 0x2fc
	v_fma_f16 v19, v19, v86, -v109
	v_fma_f16 v54, v54, v86, v110
	v_fma_f16 v4, v4, 2.0, -v18
	v_fma_f16 v51, v51, 2.0, -v52
	ds_write2_b32 v100, v6, v7 offset1:2
	v_and_or_b32 v6, v38, s4, v85
	v_mul_f16_sdwa v111, v56, v86 dst_sel:DWORD dst_unused:UNUSED_PAD src0_sel:DWORD src1_sel:WORD_1
	v_mul_f16_sdwa v112, v20, v86 dst_sel:DWORD dst_unused:UNUSED_PAD src0_sel:DWORD src1_sel:WORD_1
	v_sub_f16_e32 v19, v5, v19
	v_sub_f16_e32 v54, v53, v54
	v_lshlrev_b32_e32 v102, 2, v6
	v_pack_b32_f16 v4, v4, v51
	v_pack_b32_f16 v6, v18, v52
	v_fma_f16 v20, v20, v86, -v111
	v_fma_f16 v56, v56, v86, v112
	v_fma_f16 v5, v5, 2.0, -v19
	v_fma_f16 v53, v53, 2.0, -v54
	ds_write2_b32 v102, v4, v6 offset1:2
	v_and_or_b32 v4, v101, s4, v85
	v_mul_f16_sdwa v113, v58, v86 dst_sel:DWORD dst_unused:UNUSED_PAD src0_sel:DWORD src1_sel:WORD_1
	v_mul_f16_sdwa v114, v21, v86 dst_sel:DWORD dst_unused:UNUSED_PAD src0_sel:DWORD src1_sel:WORD_1
	v_sub_f16_e32 v20, v2, v20
	v_sub_f16_e32 v56, v55, v56
	v_lshlrev_b32_e32 v105, 2, v4
	v_pack_b32_f16 v4, v5, v53
	v_pack_b32_f16 v5, v19, v54
	v_mul_f16_sdwa v115, v59, v86 dst_sel:DWORD dst_unused:UNUSED_PAD src0_sel:DWORD src1_sel:WORD_1
	v_fma_f16 v21, v21, v86, -v113
	v_fma_f16 v58, v58, v86, v114
	v_fma_f16 v2, v2, 2.0, -v20
	v_fma_f16 v55, v55, 2.0, -v56
	ds_write2_b32 v105, v4, v5 offset1:2
	v_and_or_b32 v4, v104, s14, v85
	v_mul_f16_sdwa v116, v1, v86 dst_sel:DWORD dst_unused:UNUSED_PAD src0_sel:DWORD src1_sel:WORD_1
	v_fma_f16 v1, v1, v86, -v115
	v_sub_f16_e32 v21, v3, v21
	v_sub_f16_e32 v58, v57, v58
	v_lshlrev_b32_e32 v106, 2, v4
	v_pack_b32_f16 v2, v2, v55
	v_pack_b32_f16 v4, v20, v56
	v_fma_f16 v59, v59, v86, v116
	v_fma_f16 v3, v3, 2.0, -v21
	v_fma_f16 v57, v57, 2.0, -v58
	v_sub_f16_e32 v121, v0, v1
	v_lshrrev_b32_e32 v1, 16, v0
	ds_write2_b32 v106, v2, v4 offset1:2
	v_and_or_b32 v2, v108, s14, v85
	v_sub_f16_e32 v122, v1, v59
	v_lshlrev_b32_e32 v107, 2, v2
	v_pack_b32_f16 v2, v3, v57
	v_pack_b32_f16 v3, v21, v58
	v_lshlrev_b32_e32 v103, 1, v27
	ds_write2_b32 v107, v2, v3 offset1:2
	s_and_saveexec_b64 s[4:5], s[0:1]
	s_cbranch_execz .LBB0_11
; %bb.10:
	v_fma_f16 v0, v0, 2.0, -v121
	v_fma_f16 v1, v1, 2.0, -v122
	v_and_or_b32 v2, v103, s14, v85
	s_mov_b32 s14, 0x5040100
	v_lshlrev_b32_e32 v2, 2, v2
	v_pack_b32_f16 v0, v0, v1
	v_perm_b32 v1, v122, v121, s14
	ds_write2_b32 v2, v0, v1 offset1:2
.LBB0_11:
	s_or_b64 exec, exec, s[4:5]
	v_and_b32_e32 v20, 3, v83
	v_lshlrev_b32_e32 v0, 3, v20
	s_waitcnt lgkmcnt(0)
	; wave barrier
	s_waitcnt lgkmcnt(0)
	global_load_dwordx2 v[33:34], v0, s[2:3] offset:8
	ds_read2_b32 v[0:1], v63 offset1:44
	v_add_u32_e32 v120, 0x400, v63
	v_add_u32_e32 v119, 0x800, v63
	ds_read2_b32 v[2:3], v63 offset0:88 offset1:132
	ds_read2_b32 v[4:5], v63 offset0:176 offset1:220
	v_add_u32_e32 v27, 0xc00, v63
	ds_read_b32 v21, v63 offset:3520
	ds_read2_b32 v[6:7], v120 offset0:8 offset1:52
	ds_read2_b32 v[8:9], v119 offset0:104 offset1:148
	;; [unrolled: 1-line block ×7, first 2 shown]
	s_waitcnt lgkmcnt(6)
	v_lshrrev_b32_e32 v41, 16, v7
	s_waitcnt lgkmcnt(5)
	v_lshrrev_b32_e32 v42, 16, v8
	v_lshrrev_b32_e32 v40, 16, v21
	s_waitcnt lgkmcnt(1)
	v_lshrrev_b32_e32 v52, 16, v17
	s_waitcnt lgkmcnt(0)
	v_lshrrev_b32_e32 v54, 16, v19
	v_lshrrev_b32_e32 v43, 16, v10
	v_lshrrev_b32_e32 v44, 16, v9
	v_lshrrev_b32_e32 v32, 16, v0
	s_movk_i32 s4, 0x3aee
	s_mov_b32 s5, 0xbaee
	v_lshrrev_b32_e32 v45, 16, v11
	v_lshrrev_b32_e32 v46, 16, v12
	;; [unrolled: 1-line block ×13, first 2 shown]
	s_waitcnt lgkmcnt(0)
	; wave barrier
	s_movk_i32 s14, 0xab
	s_movk_i32 s15, 0x39e0
	s_mov_b32 s16, 0xb9e0
	s_movk_i32 s17, 0x3574
	s_mov_b32 s18, 0xb574
	s_movk_i32 s19, 0x370e
	v_cmp_gt_u16_e32 vcc, 40, v83
	s_waitcnt vmcnt(0)
	v_mul_f16_sdwa v55, v41, v33 dst_sel:DWORD dst_unused:UNUSED_PAD src0_sel:DWORD src1_sel:WORD_1
	v_mul_f16_sdwa v56, v7, v33 dst_sel:DWORD dst_unused:UNUSED_PAD src0_sel:DWORD src1_sel:WORD_1
	v_fma_f16 v7, v7, v33, -v55
	v_mul_f16_sdwa v55, v52, v34 dst_sel:DWORD dst_unused:UNUSED_PAD src0_sel:DWORD src1_sel:WORD_1
	v_fma_f16 v55, v17, v34, -v55
	v_mul_f16_sdwa v17, v17, v34 dst_sel:DWORD dst_unused:UNUSED_PAD src0_sel:DWORD src1_sel:WORD_1
	v_fma_f16 v17, v52, v34, v17
	v_mul_f16_sdwa v52, v54, v33 dst_sel:DWORD dst_unused:UNUSED_PAD src0_sel:DWORD src1_sel:WORD_1
	v_mul_f16_sdwa v57, v42, v34 dst_sel:DWORD dst_unused:UNUSED_PAD src0_sel:DWORD src1_sel:WORD_1
	v_fma_f16 v52, v19, v33, -v52
	v_mul_f16_sdwa v19, v19, v33 dst_sel:DWORD dst_unused:UNUSED_PAD src0_sel:DWORD src1_sel:WORD_1
	v_mul_f16_sdwa v58, v8, v34 dst_sel:DWORD dst_unused:UNUSED_PAD src0_sel:DWORD src1_sel:WORD_1
	v_fma_f16 v8, v8, v34, -v57
	v_fma_f16 v19, v54, v33, v19
	v_mul_f16_sdwa v54, v40, v34 dst_sel:DWORD dst_unused:UNUSED_PAD src0_sel:DWORD src1_sel:WORD_1
	v_fma_f16 v41, v41, v33, v56
	v_fma_f16 v42, v42, v34, v58
	v_fma_f16 v54, v21, v34, -v54
	v_mul_f16_sdwa v21, v21, v34 dst_sel:DWORD dst_unused:UNUSED_PAD src0_sel:DWORD src1_sel:WORD_1
	v_add_f16_e32 v56, v7, v8
	v_mul_f16_sdwa v59, v43, v33 dst_sel:DWORD dst_unused:UNUSED_PAD src0_sel:DWORD src1_sel:WORD_1
	v_mul_f16_sdwa v61, v44, v34 dst_sel:DWORD dst_unused:UNUSED_PAD src0_sel:DWORD src1_sel:WORD_1
	v_fma_f16 v21, v40, v34, v21
	v_add_f16_e32 v40, v0, v7
	v_fma_f16 v0, v56, -0.5, v0
	v_sub_f16_e32 v56, v41, v42
	v_mul_f16_sdwa v60, v10, v33 dst_sel:DWORD dst_unused:UNUSED_PAD src0_sel:DWORD src1_sel:WORD_1
	v_mul_f16_sdwa v62, v9, v34 dst_sel:DWORD dst_unused:UNUSED_PAD src0_sel:DWORD src1_sel:WORD_1
	v_fma_f16 v10, v10, v33, -v59
	v_fma_f16 v9, v9, v34, -v61
	v_fma_f16 v57, v56, s4, v0
	v_fma_f16 v0, v56, s5, v0
	v_add_f16_e32 v56, v32, v41
	v_add_f16_e32 v41, v41, v42
	v_fma_f16 v43, v43, v33, v60
	v_fma_f16 v44, v44, v34, v62
	v_fma_f16 v32, v41, -0.5, v32
	v_sub_f16_e32 v7, v7, v8
	v_add_f16_e32 v41, v10, v9
	v_mul_f16_sdwa v109, v45, v33 dst_sel:DWORD dst_unused:UNUSED_PAD src0_sel:DWORD src1_sel:WORD_1
	v_mul_f16_sdwa v111, v46, v34 dst_sel:DWORD dst_unused:UNUSED_PAD src0_sel:DWORD src1_sel:WORD_1
	v_add_f16_e32 v40, v40, v8
	v_fma_f16 v8, v7, s5, v32
	v_fma_f16 v7, v7, s4, v32
	v_add_f16_e32 v32, v1, v10
	v_fma_f16 v1, v41, -0.5, v1
	v_sub_f16_e32 v41, v43, v44
	v_mul_f16_sdwa v110, v11, v33 dst_sel:DWORD dst_unused:UNUSED_PAD src0_sel:DWORD src1_sel:WORD_1
	v_mul_f16_sdwa v112, v12, v34 dst_sel:DWORD dst_unused:UNUSED_PAD src0_sel:DWORD src1_sel:WORD_1
	v_fma_f16 v11, v11, v33, -v109
	v_fma_f16 v12, v12, v34, -v111
	v_add_f16_e32 v56, v56, v42
	v_fma_f16 v42, v41, s4, v1
	v_fma_f16 v1, v41, s5, v1
	v_add_f16_e32 v41, v35, v43
	v_add_f16_e32 v43, v43, v44
	v_fma_f16 v45, v45, v33, v110
	v_fma_f16 v46, v46, v34, v112
	v_add_f16_e32 v32, v32, v9
	v_fma_f16 v35, v43, -0.5, v35
	v_sub_f16_e32 v9, v10, v9
	v_add_f16_e32 v43, v11, v12
	v_mul_f16_sdwa v113, v47, v33 dst_sel:DWORD dst_unused:UNUSED_PAD src0_sel:DWORD src1_sel:WORD_1
	v_mul_f16_sdwa v115, v48, v34 dst_sel:DWORD dst_unused:UNUSED_PAD src0_sel:DWORD src1_sel:WORD_1
	v_fma_f16 v10, v9, s5, v35
	v_fma_f16 v9, v9, s4, v35
	v_add_f16_e32 v35, v2, v11
	v_fma_f16 v2, v43, -0.5, v2
	v_sub_f16_e32 v43, v45, v46
	v_mul_f16_sdwa v114, v14, v33 dst_sel:DWORD dst_unused:UNUSED_PAD src0_sel:DWORD src1_sel:WORD_1
	v_mul_f16_sdwa v116, v13, v34 dst_sel:DWORD dst_unused:UNUSED_PAD src0_sel:DWORD src1_sel:WORD_1
	v_fma_f16 v14, v14, v33, -v113
	v_fma_f16 v13, v13, v34, -v115
	v_add_f16_e32 v41, v41, v44
	v_fma_f16 v44, v43, s4, v2
	v_fma_f16 v2, v43, s5, v2
	v_add_f16_e32 v43, v36, v45
	v_add_f16_e32 v45, v45, v46
	v_fma_f16 v47, v47, v33, v114
	v_fma_f16 v48, v48, v34, v116
	v_fma_f16 v36, v45, -0.5, v36
	v_sub_f16_e32 v11, v11, v12
	v_add_f16_e32 v45, v14, v13
	v_mul_f16_sdwa v117, v49, v33 dst_sel:DWORD dst_unused:UNUSED_PAD src0_sel:DWORD src1_sel:WORD_1
	v_mul_f16_sdwa v123, v50, v34 dst_sel:DWORD dst_unused:UNUSED_PAD src0_sel:DWORD src1_sel:WORD_1
	v_add_f16_e32 v35, v35, v12
	v_fma_f16 v12, v11, s5, v36
	v_fma_f16 v11, v11, s4, v36
	v_add_f16_e32 v36, v3, v14
	v_fma_f16 v3, v45, -0.5, v3
	v_sub_f16_e32 v45, v47, v48
	v_mul_f16_sdwa v118, v15, v33 dst_sel:DWORD dst_unused:UNUSED_PAD src0_sel:DWORD src1_sel:WORD_1
	v_mul_f16_sdwa v124, v16, v34 dst_sel:DWORD dst_unused:UNUSED_PAD src0_sel:DWORD src1_sel:WORD_1
	v_fma_f16 v15, v15, v33, -v117
	v_fma_f16 v16, v16, v34, -v123
	v_add_f16_e32 v43, v43, v46
	v_fma_f16 v46, v45, s4, v3
	v_fma_f16 v3, v45, s5, v3
	v_add_f16_e32 v45, v37, v47
	v_add_f16_e32 v47, v47, v48
	v_fma_f16 v49, v49, v33, v118
	v_fma_f16 v50, v50, v34, v124
	v_add_f16_e32 v36, v36, v13
	v_fma_f16 v37, v47, -0.5, v37
	v_sub_f16_e32 v13, v14, v13
	v_add_f16_e32 v47, v15, v16
	v_mul_f16_sdwa v125, v51, v33 dst_sel:DWORD dst_unused:UNUSED_PAD src0_sel:DWORD src1_sel:WORD_1
	v_fma_f16 v14, v13, s5, v37
	v_fma_f16 v13, v13, s4, v37
	v_add_f16_e32 v37, v4, v15
	v_fma_f16 v4, v47, -0.5, v4
	v_sub_f16_e32 v47, v49, v50
	v_mul_f16_sdwa v126, v18, v33 dst_sel:DWORD dst_unused:UNUSED_PAD src0_sel:DWORD src1_sel:WORD_1
	v_fma_f16 v18, v18, v33, -v125
	v_add_f16_e32 v45, v45, v48
	v_fma_f16 v48, v47, s4, v4
	v_fma_f16 v4, v47, s5, v4
	v_add_f16_e32 v47, v38, v49
	v_add_f16_e32 v49, v49, v50
	v_fma_f16 v51, v51, v33, v126
	v_fma_f16 v38, v49, -0.5, v38
	v_sub_f16_e32 v15, v15, v16
	v_add_f16_e32 v49, v18, v55
	v_add_f16_e32 v37, v37, v16
	v_fma_f16 v16, v15, s5, v38
	v_fma_f16 v15, v15, s4, v38
	v_add_f16_e32 v38, v5, v18
	v_fma_f16 v5, v49, -0.5, v5
	v_sub_f16_e32 v49, v51, v17
	v_add_f16_e32 v47, v47, v50
	v_fma_f16 v50, v49, s4, v5
	v_fma_f16 v5, v49, s5, v5
	v_add_f16_e32 v49, v39, v51
	v_add_f16_e32 v49, v49, v17
	;; [unrolled: 1-line block ×3, first 2 shown]
	v_fma_f16 v17, v17, -0.5, v39
	v_sub_f16_e32 v18, v18, v55
	v_add_f16_e32 v51, v52, v54
	v_fma_f16 v39, v18, s5, v17
	v_fma_f16 v17, v18, s4, v17
	v_add_f16_e32 v18, v6, v52
	v_fma_f16 v6, v51, -0.5, v6
	v_sub_f16_e32 v51, v19, v21
	v_add_f16_e32 v38, v38, v55
	v_fma_f16 v55, v51, s4, v6
	v_fma_f16 v6, v51, s5, v6
	v_add_f16_e32 v51, v53, v19
	v_add_f16_e32 v19, v19, v21
	;; [unrolled: 1-line block ×3, first 2 shown]
	v_fma_f16 v19, v19, -0.5, v53
	v_sub_f16_e32 v21, v52, v54
	v_fma_f16 v52, v21, s5, v19
	v_fma_f16 v19, v21, s4, v19
	v_lshrrev_b32_e32 v21, 2, v83
	v_mul_u32_u24_e32 v21, 12, v21
	v_or_b32_e32 v21, v21, v20
	v_lshlrev_b32_e32 v109, 2, v21
	v_pack_b32_f16 v0, v0, v7
	ds_write_b32 v109, v0 offset:32
	v_lshrrev_b32_e32 v0, 2, v31
	v_mul_u32_u24_e32 v0, 12, v0
	v_or_b32_e32 v0, v0, v20
	v_pack_b32_f16 v21, v40, v56
	v_pack_b32_f16 v8, v57, v8
	v_lshlrev_b32_e32 v110, 2, v0
	v_pack_b32_f16 v0, v32, v41
	v_pack_b32_f16 v7, v42, v10
	ds_write2_b32 v109, v21, v8 offset1:4
	ds_write2_b32 v110, v0, v7 offset1:4
	v_pack_b32_f16 v0, v1, v9
	ds_write_b32 v110, v0 offset:32
	v_lshrrev_b32_e32 v0, 2, v22
	v_mul_u32_u24_e32 v0, 12, v0
	v_or_b32_e32 v0, v0, v20
	v_lshlrev_b32_e32 v111, 2, v0
	v_pack_b32_f16 v0, v35, v43
	v_pack_b32_f16 v1, v44, v12
	ds_write2_b32 v111, v0, v1 offset1:4
	v_pack_b32_f16 v0, v2, v11
	ds_write_b32 v111, v0 offset:32
	v_lshrrev_b32_e32 v0, 2, v26
	v_mul_u32_u24_e32 v0, 12, v0
	v_or_b32_e32 v0, v0, v20
	v_lshlrev_b32_e32 v112, 2, v0
	v_pack_b32_f16 v0, v36, v45
	v_pack_b32_f16 v1, v46, v14
	;; [unrolled: 9-line block ×4, first 2 shown]
	ds_write2_b32 v114, v0, v1 offset1:4
	v_pack_b32_f16 v0, v5, v17
	ds_write_b32 v114, v0 offset:32
	v_lshrrev_b32_e32 v0, 2, v23
	v_mul_u32_u24_e32 v0, 12, v0
	v_add_f16_e32 v18, v18, v54
	v_or_b32_e32 v0, v0, v20
	v_lshlrev_b32_e32 v115, 2, v0
	v_pack_b32_f16 v0, v18, v51
	v_pack_b32_f16 v1, v55, v52
	ds_write2_b32 v115, v0, v1 offset1:4
	v_mul_lo_u16_sdwa v0, v83, s14 dst_sel:DWORD dst_unused:UNUSED_PAD src0_sel:BYTE_0 src1_sel:DWORD
	v_lshrrev_b16_e32 v32, 11, v0
	v_mul_lo_u16_e32 v0, 12, v32
	v_sub_u16_e32 v0, v83, v0
	v_and_b32_e32 v47, 0xff, v0
	v_mad_u64_u32 v[0:1], s[4:5], v47, 24, s[2:3]
	v_pack_b32_f16 v2, v6, v19
	ds_write_b32 v115, v2 offset:32
	s_waitcnt lgkmcnt(0)
	; wave barrier
	s_waitcnt lgkmcnt(0)
	global_load_dwordx4 v[8:11], v[0:1], off offset:40
	global_load_dwordx2 v[35:36], v[0:1], off offset:56
	v_mul_lo_u16_sdwa v0, v31, s14 dst_sel:DWORD dst_unused:UNUSED_PAD src0_sel:BYTE_0 src1_sel:DWORD
	v_lshrrev_b16_e32 v48, 11, v0
	v_mul_lo_u16_e32 v0, 12, v48
	v_sub_u16_e32 v0, v31, v0
	v_and_b32_e32 v55, 0xff, v0
	v_mad_u64_u32 v[0:1], s[4:5], v55, 24, s[2:3]
	global_load_dwordx4 v[12:15], v[0:1], off offset:40
	global_load_dwordx2 v[37:38], v[0:1], off offset:56
	v_mul_lo_u16_sdwa v0, v22, s14 dst_sel:DWORD dst_unused:UNUSED_PAD src0_sel:BYTE_0 src1_sel:DWORD
	v_lshrrev_b16_e32 v56, 11, v0
	v_mul_lo_u16_e32 v0, 12, v56
	v_sub_u16_e32 v0, v22, v0
	v_and_b32_e32 v57, 0xff, v0
	v_mad_u64_u32 v[0:1], s[4:5], v57, 24, s[2:3]
	s_movk_i32 s4, 0x2b26
	s_movk_i32 s5, 0x3b00
	global_load_dwordx4 v[16:19], v[0:1], off offset:40
	ds_read2_b32 v[2:3], v63 offset0:88 offset1:132
	ds_read2_b32 v[4:5], v63 offset1:44
	ds_read2_b32 v[6:7], v120 offset0:8 offset1:52
	ds_read2_b32 v[20:21], v120 offset0:96 offset1:140
	;; [unrolled: 1-line block ×7, first 2 shown]
	global_load_dwordx2 v[39:40], v[0:1], off offset:56
	s_waitcnt lgkmcnt(8)
	v_lshrrev_b32_e32 v45, 16, v3
	s_waitcnt lgkmcnt(6)
	v_lshrrev_b32_e32 v46, 16, v6
	;; [unrolled: 2-line block ×7, first 2 shown]
	v_lshrrev_b32_e32 v54, 16, v7
	ds_read2_b32 v[0:1], v119 offset0:192 offset1:236
	s_waitcnt lgkmcnt(1)
	v_lshrrev_b32_e32 v58, 16, v43
	v_lshrrev_b32_e32 v59, 16, v23
	;; [unrolled: 1-line block ×4, first 2 shown]
	s_waitcnt lgkmcnt(0)
	v_lshrrev_b32_e32 v60, 16, v0
	v_lshrrev_b32_e32 v117, 16, v20
	ds_read_b32 v116, v63 offset:3520
	v_lshrrev_b32_e32 v118, 16, v44
	v_lshrrev_b32_e32 v123, 16, v24
	;; [unrolled: 1-line block ×3, first 2 shown]
	s_mov_b32 s14, 0xbcab
	s_waitcnt lgkmcnt(0)
	v_lshrrev_b32_e32 v125, 16, v116
	s_waitcnt lgkmcnt(0)
	; wave barrier
	s_waitcnt vmcnt(5)
	v_mul_f16_sdwa v126, v45, v8 dst_sel:DWORD dst_unused:UNUSED_PAD src0_sel:DWORD src1_sel:WORD_1
	v_fma_f16 v126, v3, v8, -v126
	v_mul_f16_sdwa v3, v3, v8 dst_sel:DWORD dst_unused:UNUSED_PAD src0_sel:DWORD src1_sel:WORD_1
	v_fma_f16 v3, v45, v8, v3
	v_mul_f16_sdwa v45, v46, v9 dst_sel:DWORD dst_unused:UNUSED_PAD src0_sel:DWORD src1_sel:WORD_1
	v_fma_f16 v45, v6, v9, -v45
	v_mul_f16_sdwa v6, v6, v9 dst_sel:DWORD dst_unused:UNUSED_PAD src0_sel:DWORD src1_sel:WORD_1
	v_fma_f16 v6, v46, v9, v6
	;; [unrolled: 4-line block ×4, first 2 shown]
	s_waitcnt vmcnt(4)
	v_mul_f16_sdwa v50, v51, v35 dst_sel:DWORD dst_unused:UNUSED_PAD src0_sel:DWORD src1_sel:WORD_1
	v_fma_f16 v50, v25, v35, -v50
	v_mul_f16_sdwa v25, v25, v35 dst_sel:DWORD dst_unused:UNUSED_PAD src0_sel:DWORD src1_sel:WORD_1
	v_fma_f16 v25, v51, v35, v25
	v_mul_f16_sdwa v51, v52, v36 dst_sel:DWORD dst_unused:UNUSED_PAD src0_sel:DWORD src1_sel:WORD_1
	v_fma_f16 v51, v26, v36, -v51
	v_mul_f16_sdwa v26, v26, v36 dst_sel:DWORD dst_unused:UNUSED_PAD src0_sel:DWORD src1_sel:WORD_1
	v_fma_f16 v26, v52, v36, v26
	s_waitcnt vmcnt(3)
	v_mul_f16_sdwa v52, v53, v12 dst_sel:DWORD dst_unused:UNUSED_PAD src0_sel:DWORD src1_sel:WORD_1
	v_fma_f16 v52, v41, v12, -v52
	v_mul_f16_sdwa v41, v41, v12 dst_sel:DWORD dst_unused:UNUSED_PAD src0_sel:DWORD src1_sel:WORD_1
	v_fma_f16 v41, v53, v12, v41
	v_mul_f16_sdwa v53, v54, v13 dst_sel:DWORD dst_unused:UNUSED_PAD src0_sel:DWORD src1_sel:WORD_1
	v_fma_f16 v53, v7, v13, -v53
	v_mul_f16_sdwa v7, v7, v13 dst_sel:DWORD dst_unused:UNUSED_PAD src0_sel:DWORD src1_sel:WORD_1
	v_fma_f16 v7, v54, v13, v7
	;; [unrolled: 4-line block ×4, first 2 shown]
	s_waitcnt vmcnt(2)
	v_mul_f16_sdwa v59, v60, v37 dst_sel:DWORD dst_unused:UNUSED_PAD src0_sel:DWORD src1_sel:WORD_1
	v_fma_f16 v59, v0, v37, -v59
	v_mul_f16_sdwa v0, v0, v37 dst_sel:DWORD dst_unused:UNUSED_PAD src0_sel:DWORD src1_sel:WORD_1
	v_fma_f16 v0, v60, v37, v0
	v_mul_f16_sdwa v60, v61, v38 dst_sel:DWORD dst_unused:UNUSED_PAD src0_sel:DWORD src1_sel:WORD_1
	v_fma_f16 v60, v27, v38, -v60
	v_mul_f16_sdwa v27, v27, v38 dst_sel:DWORD dst_unused:UNUSED_PAD src0_sel:DWORD src1_sel:WORD_1
	v_fma_f16 v27, v61, v38, v27
	s_waitcnt vmcnt(1)
	v_mul_f16_sdwa v61, v62, v16 dst_sel:DWORD dst_unused:UNUSED_PAD src0_sel:DWORD src1_sel:WORD_1
	v_fma_f16 v61, v42, v16, -v61
	v_mul_f16_sdwa v42, v42, v16 dst_sel:DWORD dst_unused:UNUSED_PAD src0_sel:DWORD src1_sel:WORD_1
	v_fma_f16 v42, v62, v16, v42
	v_mul_f16_sdwa v62, v117, v17 dst_sel:DWORD dst_unused:UNUSED_PAD src0_sel:DWORD src1_sel:WORD_1
	v_fma_f16 v62, v20, v17, -v62
	v_mul_f16_sdwa v20, v20, v17 dst_sel:DWORD dst_unused:UNUSED_PAD src0_sel:DWORD src1_sel:WORD_1
	v_fma_f16 v20, v117, v17, v20
	;; [unrolled: 4-line block ×3, first 2 shown]
	v_mul_f16_sdwa v44, v123, v19 dst_sel:DWORD dst_unused:UNUSED_PAD src0_sel:DWORD src1_sel:WORD_1
	v_fma_f16 v127, v24, v19, -v44
	s_waitcnt vmcnt(0)
	v_mul_f16_sdwa v44, v124, v39 dst_sel:DWORD dst_unused:UNUSED_PAD src0_sel:DWORD src1_sel:WORD_1
	v_fma_f16 v128, v1, v39, -v44
	v_mul_f16_sdwa v44, v125, v40 dst_sel:DWORD dst_unused:UNUSED_PAD src0_sel:DWORD src1_sel:WORD_1
	v_mul_f16_sdwa v24, v24, v19 dst_sel:DWORD dst_unused:UNUSED_PAD src0_sel:DWORD src1_sel:WORD_1
	;; [unrolled: 1-line block ×3, first 2 shown]
	v_fma_f16 v129, v116, v40, -v44
	v_mul_f16_sdwa v44, v116, v40 dst_sel:DWORD dst_unused:UNUSED_PAD src0_sel:DWORD src1_sel:WORD_1
	v_fma_f16 v24, v123, v19, v24
	v_fma_f16 v1, v124, v39, v1
	;; [unrolled: 1-line block ×3, first 2 shown]
	v_add_f16_e32 v44, v126, v51
	v_add_f16_e32 v123, v3, v26
	v_sub_f16_e32 v3, v3, v26
	v_add_f16_e32 v26, v45, v50
	v_add_f16_e32 v124, v6, v25
	v_sub_f16_e32 v51, v126, v51
	v_sub_f16_e32 v45, v45, v50
	;; [unrolled: 1-line block ×3, first 2 shown]
	v_add_f16_e32 v25, v46, v49
	v_add_f16_e32 v50, v21, v22
	v_sub_f16_e32 v46, v49, v46
	v_sub_f16_e32 v21, v22, v21
	v_add_f16_e32 v22, v26, v44
	v_add_f16_e32 v49, v124, v123
	v_sub_f16_e32 v125, v26, v44
	v_sub_f16_e32 v126, v124, v123
	;; [unrolled: 1-line block ×6, first 2 shown]
	v_add_f16_e32 v130, v46, v45
	v_add_f16_e32 v131, v21, v6
	v_sub_f16_e32 v132, v46, v45
	v_sub_f16_e32 v133, v21, v6
	v_sub_f16_e32 v45, v45, v51
	v_sub_f16_e32 v6, v6, v3
	v_add_f16_e32 v22, v25, v22
	v_add_f16_e32 v25, v50, v49
	v_sub_f16_e32 v46, v51, v46
	v_sub_f16_e32 v21, v3, v21
	v_add_f16_e32 v49, v130, v51
	v_add_f16_e32 v3, v131, v3
	;; [unrolled: 1-line block ×3, first 2 shown]
	v_add_f16_sdwa v4, v4, v25 dst_sel:DWORD dst_unused:UNUSED_PAD src0_sel:WORD_1 src1_sel:DWORD
	v_mul_f16_e32 v44, 0x3a52, v44
	v_mul_f16_e32 v50, 0x3a52, v123
	;; [unrolled: 1-line block ×8, first 2 shown]
	v_fma_f16 v22, v22, s14, v134
	v_fma_f16 v25, v25, s14, v4
	;; [unrolled: 1-line block ×4, first 2 shown]
	v_fma_f16 v51, v125, s15, -v51
	v_fma_f16 v123, v126, s15, -v123
	;; [unrolled: 1-line block ×4, first 2 shown]
	v_fma_f16 v125, v46, s17, v130
	v_fma_f16 v126, v21, s17, v131
	v_fma_f16 v45, v45, s5, -v130
	v_fma_f16 v6, v6, s5, -v131
	;; [unrolled: 1-line block ×4, first 2 shown]
	v_add_f16_e32 v26, v26, v22
	v_add_f16_e32 v124, v124, v25
	v_add_f16_e32 v51, v51, v22
	v_add_f16_e32 v123, v123, v25
	v_add_f16_e32 v22, v44, v22
	v_add_f16_e32 v25, v50, v25
	v_fma_f16 v44, v49, s19, v125
	v_fma_f16 v50, v3, s19, v126
	;; [unrolled: 1-line block ×6, first 2 shown]
	v_add_f16_e32 v21, v50, v26
	v_sub_f16_e32 v125, v124, v44
	v_add_f16_e32 v135, v3, v22
	v_sub_f16_e32 v136, v25, v46
	;; [unrolled: 2-line block ×3, first 2 shown]
	v_sub_f16_e32 v3, v22, v3
	v_add_f16_e32 v22, v46, v25
	v_sub_f16_e32 v25, v26, v50
	v_add_f16_e32 v26, v44, v124
	v_add_f16_e32 v44, v52, v60
	;; [unrolled: 1-line block ×3, first 2 shown]
	v_sub_f16_e32 v27, v41, v27
	v_add_f16_e32 v41, v53, v59
	v_add_f16_e32 v49, v7, v0
	v_sub_f16_e32 v137, v51, v6
	v_add_f16_e32 v6, v6, v51
	v_sub_f16_e32 v46, v52, v60
	v_sub_f16_e32 v50, v53, v59
	;; [unrolled: 1-line block ×3, first 2 shown]
	v_add_f16_e32 v7, v54, v58
	v_add_f16_e32 v51, v43, v23
	v_sub_f16_e32 v52, v58, v54
	v_sub_f16_e32 v23, v23, v43
	v_add_f16_e32 v43, v41, v44
	v_add_f16_e32 v53, v49, v45
	v_sub_f16_e32 v54, v41, v44
	v_sub_f16_e32 v58, v49, v45
	v_sub_f16_e32 v44, v44, v7
	v_sub_f16_e32 v45, v45, v51
	v_sub_f16_e32 v41, v7, v41
	v_sub_f16_e32 v49, v51, v49
	v_add_f16_e32 v59, v52, v50
	v_add_f16_e32 v60, v23, v0
	v_sub_f16_e32 v123, v52, v50
	v_sub_f16_e32 v124, v23, v0
	;; [unrolled: 1-line block ×4, first 2 shown]
	v_add_f16_e32 v7, v7, v43
	v_add_f16_e32 v43, v51, v53
	v_sub_f16_e32 v52, v46, v52
	v_sub_f16_e32 v23, v27, v23
	v_add_f16_e32 v46, v59, v46
	v_add_f16_e32 v27, v60, v27
	v_add_f16_e32 v59, v5, v7
	v_add_f16_sdwa v5, v5, v43 dst_sel:DWORD dst_unused:UNUSED_PAD src0_sel:WORD_1 src1_sel:DWORD
	v_mul_f16_e32 v44, 0x3a52, v44
	v_mul_f16_e32 v45, 0x3a52, v45
	;; [unrolled: 1-line block ×8, first 2 shown]
	v_fma_f16 v7, v7, s14, v59
	v_fma_f16 v43, v43, s14, v5
	;; [unrolled: 1-line block ×4, first 2 shown]
	v_fma_f16 v51, v54, s15, -v51
	v_fma_f16 v53, v58, s15, -v53
	;; [unrolled: 1-line block ×4, first 2 shown]
	v_fma_f16 v54, v52, s17, v60
	v_fma_f16 v58, v23, s17, v123
	v_fma_f16 v50, v50, s5, -v60
	v_fma_f16 v0, v0, s5, -v123
	;; [unrolled: 1-line block ×4, first 2 shown]
	v_add_f16_e32 v41, v41, v7
	v_add_f16_e32 v51, v51, v7
	;; [unrolled: 1-line block ×5, first 2 shown]
	v_fma_f16 v54, v46, s19, v54
	v_fma_f16 v58, v27, s19, v58
	;; [unrolled: 1-line block ×6, first 2 shown]
	v_add_f16_e32 v49, v49, v43
	v_add_f16_e32 v27, v58, v41
	v_add_f16_e32 v140, v23, v7
	v_sub_f16_e32 v141, v45, v46
	v_sub_f16_e32 v142, v51, v0
	v_add_f16_e32 v143, v44, v53
	v_add_f16_e32 v43, v0, v51
	v_sub_f16_e32 v123, v53, v44
	v_sub_f16_e32 v44, v7, v23
	v_add_f16_e32 v124, v46, v45
	v_sub_f16_e32 v45, v41, v58
	v_add_f16_e32 v0, v61, v129
	v_add_f16_e32 v7, v42, v116
	v_sub_f16_e32 v41, v42, v116
	v_add_f16_e32 v42, v62, v128
	;; [unrolled: 3-line block ×3, first 2 shown]
	v_sub_f16_e32 v49, v62, v128
	v_sub_f16_e32 v1, v20, v1
	v_add_f16_e32 v20, v117, v127
	v_add_f16_e32 v50, v118, v24
	v_sub_f16_e32 v51, v127, v117
	v_sub_f16_e32 v24, v24, v118
	v_add_f16_e32 v52, v42, v0
	v_add_f16_e32 v53, v46, v7
	v_sub_f16_e32 v23, v61, v129
	v_sub_f16_e32 v54, v42, v0
	;; [unrolled: 1-line block ×7, first 2 shown]
	v_add_f16_e32 v46, v51, v49
	v_add_f16_e32 v62, v24, v1
	v_sub_f16_e32 v116, v51, v49
	v_sub_f16_e32 v117, v24, v1
	v_sub_f16_e32 v1, v1, v41
	v_add_f16_e32 v20, v20, v52
	v_add_f16_e32 v50, v50, v53
	v_sub_f16_e32 v51, v23, v51
	v_sub_f16_e32 v24, v41, v24
	;; [unrolled: 1-line block ×3, first 2 shown]
	v_add_f16_e32 v23, v46, v23
	v_add_f16_e32 v41, v62, v41
	;; [unrolled: 1-line block ×3, first 2 shown]
	v_add_f16_sdwa v127, v2, v50 dst_sel:DWORD dst_unused:UNUSED_PAD src0_sel:WORD_1 src1_sel:DWORD
	v_mul_f16_e32 v0, 0x3a52, v0
	v_mul_f16_e32 v2, 0x3a52, v7
	;; [unrolled: 1-line block ×8, first 2 shown]
	v_fma_f16 v20, v20, s14, v46
	v_fma_f16 v50, v50, s14, v127
	;; [unrolled: 1-line block ×4, first 2 shown]
	v_fma_f16 v7, v54, s15, -v7
	v_fma_f16 v52, v58, s15, -v52
	;; [unrolled: 1-line block ×4, first 2 shown]
	v_fma_f16 v54, v51, s17, v53
	v_fma_f16 v58, v24, s17, v62
	v_fma_f16 v49, v49, s5, -v53
	v_fma_f16 v24, v24, s18, -v117
	;; [unrolled: 1-line block ×3, first 2 shown]
	v_add_f16_e32 v42, v42, v20
	v_add_f16_e32 v7, v7, v20
	;; [unrolled: 1-line block ×4, first 2 shown]
	v_fma_f16 v20, v23, s19, v54
	v_fma_f16 v54, v41, s19, v58
	;; [unrolled: 1-line block ×4, first 2 shown]
	v_fma_f16 v51, v51, s18, -v116
	v_add_f16_e32 v61, v61, v50
	v_add_f16_e32 v2, v2, v50
	v_fma_f16 v1, v41, s19, v1
	v_add_f16_e32 v50, v24, v0
	v_add_f16_e32 v133, v58, v53
	v_sub_f16_e32 v132, v53, v58
	v_sub_f16_e32 v53, v0, v24
	v_mul_u32_u24_e32 v0, 0x54, v32
	v_fma_f16 v23, v23, s19, v51
	v_sub_f16_e32 v51, v7, v1
	v_add_f16_e32 v52, v1, v7
	v_add_lshl_u32 v116, v0, v47, 2
	v_pack_b32_f16 v0, v134, v4
	v_pack_b32_f16 v1, v21, v125
	ds_write2_b32 v116, v0, v1 offset1:12
	v_pack_b32_f16 v0, v135, v136
	v_pack_b32_f16 v1, v137, v138
	ds_write2_b32 v116, v0, v1 offset0:24 offset1:36
	v_pack_b32_f16 v0, v6, v139
	v_pack_b32_f16 v1, v3, v22
	ds_write2_b32 v116, v0, v1 offset0:48 offset1:60
	v_pack_b32_f16 v0, v25, v26
	ds_write_b32 v116, v0 offset:288
	v_mul_u32_u24_e32 v0, 0x54, v48
	v_add_lshl_u32 v117, v0, v55, 2
	v_pack_b32_f16 v0, v59, v5
	v_pack_b32_f16 v1, v27, v60
	ds_write2_b32 v117, v0, v1 offset1:12
	v_pack_b32_f16 v0, v140, v141
	v_pack_b32_f16 v1, v142, v143
	ds_write2_b32 v117, v0, v1 offset0:24 offset1:36
	v_pack_b32_f16 v0, v43, v123
	v_pack_b32_f16 v1, v44, v124
	ds_write2_b32 v117, v0, v1 offset0:48 offset1:60
	v_pack_b32_f16 v0, v45, v126
	v_add_f16_e32 v49, v54, v42
	v_sub_f16_e32 v128, v61, v20
	ds_write_b32 v117, v0 offset:288
	v_mul_u32_u24_e32 v0, 0x54, v56
	v_sub_f16_e32 v129, v2, v23
	v_add_lshl_u32 v118, v0, v57, 2
	v_pack_b32_f16 v0, v46, v127
	v_pack_b32_f16 v1, v49, v128
	v_add_f16_e32 v131, v23, v2
	ds_write2_b32 v118, v0, v1 offset1:12
	v_pack_b32_f16 v0, v50, v129
	v_pack_b32_f16 v1, v51, v133
	v_sub_f16_e32 v54, v42, v54
	v_add_f16_e32 v130, v20, v61
	ds_write2_b32 v118, v0, v1 offset0:24 offset1:36
	v_pack_b32_f16 v0, v52, v132
	v_pack_b32_f16 v1, v53, v131
	ds_write2_b32 v118, v0, v1 offset0:48 offset1:60
	v_pack_b32_f16 v0, v54, v130
	v_add_u32_e32 v125, 0x600, v63
	ds_write_b32 v118, v0 offset:288
	s_waitcnt lgkmcnt(0)
	; wave barrier
	s_waitcnt lgkmcnt(0)
	ds_read2_b32 v[47:48], v63 offset1:84
	ds_read2_b32 v[61:62], v63 offset0:168 offset1:252
	ds_read2_b32 v[57:58], v120 offset0:80 offset1:164
	;; [unrolled: 1-line block ×4, first 2 shown]
	ds_read_b32 v134, v63 offset:3360
	s_and_saveexec_b64 s[4:5], vcc
	s_cbranch_execz .LBB0_13
; %bb.12:
	v_add_u32_e32 v0, 0x200, v63
	ds_read2_b32 v[43:44], v63 offset0:44 offset1:128
	ds_read2_b32 v[45:46], v0 offset0:84 offset1:168
	;; [unrolled: 1-line block ×3, first 2 shown]
	v_add_u32_e32 v0, 0xa00, v63
	ds_read2_b32 v[51:52], v119 offset0:36 offset1:120
	ds_read2_b32 v[53:54], v0 offset0:76 offset1:160
	ds_read_b32 v121, v63 offset:3536
	s_waitcnt lgkmcnt(5)
	v_lshrrev_b32_e32 v123, 16, v43
	v_lshrrev_b32_e32 v124, 16, v44
	s_waitcnt lgkmcnt(4)
	v_lshrrev_b32_e32 v126, 16, v45
	v_lshrrev_b32_e32 v127, 16, v46
	;; [unrolled: 3-line block ×5, first 2 shown]
	s_waitcnt lgkmcnt(0)
	v_lshrrev_b32_e32 v122, 16, v121
.LBB0_13:
	s_or_b64 exec, exec, s[4:5]
	v_subrev_u32_e32 v2, 40, v83
	v_mad_u64_u32 v[0:1], s[4:5], v83, 40, s[2:3]
	v_cndmask_b32_e32 v2, v2, v31, vcc
	v_mul_hi_i32_i24_e32 v4, 40, v2
	v_mul_i32_i24_e32 v2, 40, v2
	v_mov_b32_e32 v3, s3
	v_add_co_u32_e64 v31, s[2:3], s2, v2
	v_addc_co_u32_e64 v32, s[2:3], v3, v4, s[2:3]
	global_load_dwordx4 v[20:23], v[0:1], off offset:328
	global_load_dwordx4 v[24:27], v[0:1], off offset:344
	global_load_dwordx2 v[41:42], v[0:1], off offset:360
	s_nop 0
	global_load_dwordx4 v[0:3], v[31:32], off offset:328
	global_load_dwordx4 v[4:7], v[31:32], off offset:344
	s_waitcnt lgkmcnt(2)
	v_lshrrev_b32_e32 v140, 16, v59
	global_load_dwordx2 v[31:32], v[31:32], off offset:360
	v_lshrrev_b32_e32 v137, 16, v62
	v_lshrrev_b32_e32 v138, 16, v57
	;; [unrolled: 1-line block ×6, first 2 shown]
	s_waitcnt lgkmcnt(1)
	v_lshrrev_b32_e32 v142, 16, v55
	v_lshrrev_b32_e32 v143, 16, v56
	s_waitcnt lgkmcnt(0)
	v_lshrrev_b32_e32 v144, 16, v134
	s_movk_i32 s4, 0x3abb
	s_movk_i32 s14, 0x36a6
	s_mov_b32 s15, 0xb08e
	s_mov_b32 s16, 0xb93d
	;; [unrolled: 1-line block ×8, first 2 shown]
	s_movk_i32 s22, 0x3482
	s_movk_i32 s23, 0x3beb
	;; [unrolled: 1-line block ×4, first 2 shown]
	s_waitcnt vmcnt(5)
	v_mul_f16_sdwa v150, v62, v22 dst_sel:DWORD dst_unused:UNUSED_PAD src0_sel:DWORD src1_sel:WORD_1
	s_waitcnt vmcnt(4)
	v_mul_f16_sdwa v155, v140, v25 dst_sel:DWORD dst_unused:UNUSED_PAD src0_sel:DWORD src1_sel:WORD_1
	v_mul_f16_sdwa v148, v61, v21 dst_sel:DWORD dst_unused:UNUSED_PAD src0_sel:DWORD src1_sel:WORD_1
	s_waitcnt vmcnt(1)
	v_mul_f16_sdwa v173, v129, v4 dst_sel:DWORD dst_unused:UNUSED_PAD src0_sel:DWORD src1_sel:WORD_1
	v_mul_f16_sdwa v149, v137, v22 dst_sel:DWORD dst_unused:UNUSED_PAD src0_sel:DWORD src1_sel:WORD_1
	v_mul_f16_sdwa v151, v138, v23 dst_sel:DWORD dst_unused:UNUSED_PAD src0_sel:DWORD src1_sel:WORD_1
	v_mul_f16_sdwa v156, v59, v25 dst_sel:DWORD dst_unused:UNUSED_PAD src0_sel:DWORD src1_sel:WORD_1
	v_mul_f16_sdwa v157, v141, v26 dst_sel:DWORD dst_unused:UNUSED_PAD src0_sel:DWORD src1_sel:WORD_1
	v_mul_f16_sdwa v174, v50, v4 dst_sel:DWORD dst_unused:UNUSED_PAD src0_sel:DWORD src1_sel:WORD_1
	v_fma_f16 v137, v137, v22, v150
	v_fma_f16 v150, v59, v25, -v155
	v_fma_f16 v59, v50, v4, -v173
	v_mul_f16_sdwa v50, v133, v5 dst_sel:DWORD dst_unused:UNUSED_PAD src0_sel:DWORD src1_sel:WORD_1
	v_mul_f16_sdwa v146, v48, v20 dst_sel:DWORD dst_unused:UNUSED_PAD src0_sel:DWORD src1_sel:WORD_1
	;; [unrolled: 1-line block ×4, first 2 shown]
	v_fma_f16 v136, v136, v21, v148
	v_fma_f16 v148, v57, v23, -v151
	v_fma_f16 v151, v60, v26, -v157
	;; [unrolled: 1-line block ×3, first 2 shown]
	v_mul_f16_sdwa v50, v51, v5 dst_sel:DWORD dst_unused:UNUSED_PAD src0_sel:DWORD src1_sel:WORD_1
	v_mul_f16_sdwa v51, v132, v6 dst_sel:DWORD dst_unused:UNUSED_PAD src0_sel:DWORD src1_sel:WORD_1
	;; [unrolled: 1-line block ×3, first 2 shown]
	v_fma_f16 v135, v135, v20, v146
	v_fma_f16 v146, v61, v21, -v147
	v_fma_f16 v61, v52, v6, -v51
	v_mul_f16_sdwa v51, v52, v6 dst_sel:DWORD dst_unused:UNUSED_PAD src0_sel:DWORD src1_sel:WORD_1
	v_mul_f16_sdwa v52, v131, v7 dst_sel:DWORD dst_unused:UNUSED_PAD src0_sel:DWORD src1_sel:WORD_1
	;; [unrolled: 1-line block ×4, first 2 shown]
	v_fma_f16 v147, v62, v22, -v149
	v_fma_f16 v62, v53, v7, -v52
	v_mul_f16_sdwa v52, v53, v7 dst_sel:DWORD dst_unused:UNUSED_PAD src0_sel:DWORD src1_sel:WORD_1
	s_waitcnt vmcnt(0)
	v_mul_f16_sdwa v53, v130, v31 dst_sel:DWORD dst_unused:UNUSED_PAD src0_sel:DWORD src1_sel:WORD_1
	v_mul_f16_sdwa v152, v57, v23 dst_sel:DWORD dst_unused:UNUSED_PAD src0_sel:DWORD src1_sel:WORD_1
	;; [unrolled: 1-line block ×3, first 2 shown]
	v_fma_f16 v57, v46, v2, -v169
	v_fma_f16 v46, v127, v2, v170
	v_fma_f16 v127, v54, v31, -v53
	v_mul_f16_sdwa v53, v54, v31 dst_sel:DWORD dst_unused:UNUSED_PAD src0_sel:DWORD src1_sel:WORD_1
	v_mul_f16_sdwa v54, v122, v32 dst_sel:DWORD dst_unused:UNUSED_PAD src0_sel:DWORD src1_sel:WORD_1
	;; [unrolled: 1-line block ×3, first 2 shown]
	v_fma_f16 v145, v48, v20, -v145
	v_fma_f16 v48, v128, v3, v172
	v_fma_f16 v128, v121, v32, -v54
	v_mul_f16_sdwa v54, v121, v32 dst_sel:DWORD dst_unused:UNUSED_PAD src0_sel:DWORD src1_sel:WORD_1
	v_fma_f16 v54, v122, v32, v54
	v_add_f16_e32 v121, v47, v145
	v_add_f16_sdwa v122, v47, v135 dst_sel:DWORD dst_unused:UNUSED_PAD src0_sel:WORD_1 src1_sel:DWORD
	v_add_f16_e32 v121, v121, v146
	v_add_f16_e32 v122, v122, v136
	v_mul_f16_sdwa v153, v139, v24 dst_sel:DWORD dst_unused:UNUSED_PAD src0_sel:DWORD src1_sel:WORD_1
	v_mul_f16_sdwa v154, v58, v24 dst_sel:DWORD dst_unused:UNUSED_PAD src0_sel:DWORD src1_sel:WORD_1
	v_fma_f16 v138, v138, v23, v152
	v_add_f16_e32 v121, v121, v147
	v_add_f16_e32 v122, v122, v137
	v_fma_f16 v149, v58, v24, -v153
	v_fma_f16 v139, v139, v24, v154
	v_add_f16_e32 v121, v121, v148
	v_add_f16_e32 v122, v122, v138
	v_fma_f16 v140, v140, v25, v156
	v_add_f16_e32 v121, v121, v149
	v_add_f16_e32 v122, v122, v139
	v_mul_f16_sdwa v159, v142, v27 dst_sel:DWORD dst_unused:UNUSED_PAD src0_sel:DWORD src1_sel:WORD_1
	v_mul_f16_sdwa v160, v55, v27 dst_sel:DWORD dst_unused:UNUSED_PAD src0_sel:DWORD src1_sel:WORD_1
	v_fma_f16 v141, v141, v26, v158
	v_add_f16_e32 v121, v121, v150
	v_add_f16_e32 v122, v122, v140
	v_mul_f16_sdwa v161, v143, v41 dst_sel:DWORD dst_unused:UNUSED_PAD src0_sel:DWORD src1_sel:WORD_1
	v_mul_f16_sdwa v162, v56, v41 dst_sel:DWORD dst_unused:UNUSED_PAD src0_sel:DWORD src1_sel:WORD_1
	;; [unrolled: 1-line block ×4, first 2 shown]
	v_fma_f16 v152, v55, v27, -v159
	v_fma_f16 v142, v142, v27, v160
	v_add_f16_e32 v121, v121, v151
	v_add_f16_e32 v122, v122, v141
	v_mul_f16_sdwa v165, v124, v0 dst_sel:DWORD dst_unused:UNUSED_PAD src0_sel:DWORD src1_sel:WORD_1
	v_mul_f16_sdwa v166, v44, v0 dst_sel:DWORD dst_unused:UNUSED_PAD src0_sel:DWORD src1_sel:WORD_1
	v_mul_f16_sdwa v167, v126, v1 dst_sel:DWORD dst_unused:UNUSED_PAD src0_sel:DWORD src1_sel:WORD_1
	v_mul_f16_sdwa v168, v45, v1 dst_sel:DWORD dst_unused:UNUSED_PAD src0_sel:DWORD src1_sel:WORD_1
	v_fma_f16 v153, v56, v41, -v161
	v_fma_f16 v143, v143, v41, v162
	v_fma_f16 v134, v134, v42, -v163
	v_fma_f16 v144, v144, v42, v164
	v_add_f16_e32 v121, v121, v152
	v_add_f16_e32 v122, v122, v142
	v_fma_f16 v55, v44, v0, -v165
	v_fma_f16 v44, v124, v0, v166
	v_fma_f16 v56, v45, v1, -v167
	v_fma_f16 v45, v126, v1, v168
	v_add_f16_e32 v121, v121, v153
	v_add_f16_e32 v122, v122, v143
	v_sub_f16_e32 v124, v145, v134
	v_sub_f16_e32 v126, v135, v144
	v_fma_f16 v58, v49, v3, -v171
	v_fma_f16 v49, v129, v4, v174
	v_fma_f16 v50, v133, v5, v50
	v_fma_f16 v52, v131, v7, v52
	v_add_f16_e32 v168, v121, v134
	v_add_f16_e32 v169, v122, v144
	;; [unrolled: 1-line block ×4, first 2 shown]
	v_mul_f16_e32 v129, 0xb853, v126
	v_mul_f16_e32 v131, 0xb853, v124
	;; [unrolled: 1-line block ×10, first 2 shown]
	v_fma_f16 v51, v132, v6, v51
	v_fma_f16 v53, v130, v31, v53
	v_fma_f16 v130, v121, s4, -v129
	v_fma_f16 v132, v122, s4, v131
	v_fma_f16 v129, v121, s4, v129
	v_fma_f16 v131, v122, s4, -v131
	v_fma_f16 v134, v121, s14, -v133
	v_fma_f16 v144, v122, s14, v135
	v_fma_f16 v133, v121, s14, v133
	v_fma_f16 v135, v122, s14, -v135
	;; [unrolled: 4-line block ×5, first 2 shown]
	v_add_f16_e32 v124, v136, v143
	v_sub_f16_e32 v136, v136, v143
	v_add_f16_e32 v130, v47, v130
	v_add_f16_sdwa v132, v47, v132 dst_sel:DWORD dst_unused:UNUSED_PAD src0_sel:WORD_1 src1_sel:DWORD
	v_add_f16_e32 v129, v47, v129
	v_add_f16_sdwa v131, v47, v131 dst_sel:DWORD dst_unused:UNUSED_PAD src0_sel:WORD_1 src1_sel:DWORD
	;; [unrolled: 2-line block ×10, first 2 shown]
	v_add_f16_e32 v122, v146, v153
	v_mul_f16_e32 v143, 0xbb47, v136
	v_sub_f16_e32 v126, v146, v153
	v_fma_f16 v146, v122, s14, -v143
	v_add_f16_e32 v130, v146, v130
	v_mul_f16_e32 v146, 0xbb47, v126
	v_fma_f16 v143, v122, s14, v143
	v_add_f16_e32 v129, v143, v129
	v_fma_f16 v143, v124, s14, -v146
	v_add_f16_e32 v131, v143, v131
	v_mul_f16_e32 v143, 0xba0c, v136
	v_fma_f16 v153, v124, s14, v146
	v_fma_f16 v146, v122, s16, -v143
	v_add_f16_e32 v134, v146, v134
	v_mul_f16_e32 v146, 0xba0c, v126
	v_fma_f16 v143, v122, s16, v143
	v_add_f16_e32 v133, v143, v133
	v_fma_f16 v143, v124, s16, -v146
	v_add_f16_e32 v132, v153, v132
	v_fma_f16 v153, v124, s16, v146
	v_add_f16_e32 v135, v143, v135
	v_mul_f16_e32 v143, 0x3482, v136
	v_add_f16_e32 v144, v153, v144
	v_fma_f16 v146, v122, s19, -v143
	v_mul_f16_e32 v153, 0x3482, v126
	v_fma_f16 v143, v122, s19, v143
	v_add_f16_e32 v146, v146, v154
	v_fma_f16 v154, v124, s19, v153
	v_add_f16_e32 v143, v143, v145
	v_fma_f16 v145, v124, s19, -v153
	v_mul_f16_e32 v153, 0x3beb, v136
	v_add_f16_e32 v145, v145, v155
	v_fma_f16 v155, v122, s15, -v153
	v_fma_f16 v153, v122, s15, v153
	v_mul_f16_e32 v136, 0x3853, v136
	v_add_f16_e32 v154, v154, v156
	v_mul_f16_e32 v156, 0x3beb, v126
	v_add_f16_e32 v153, v153, v157
	v_fma_f16 v157, v122, s4, -v136
	v_mul_f16_e32 v126, 0x3853, v126
	v_fma_f16 v122, v122, s4, v136
	v_add_f16_e32 v155, v155, v158
	v_fma_f16 v158, v124, s15, v156
	v_fma_f16 v156, v124, s15, -v156
	v_add_f16_e32 v121, v122, v121
	v_fma_f16 v122, v124, s4, -v126
	v_sub_f16_e32 v136, v137, v142
	v_add_f16_e32 v156, v156, v159
	v_fma_f16 v159, v124, s4, v126
	v_add_f16_e32 v47, v122, v47
	v_add_f16_e32 v122, v147, v152
	;; [unrolled: 1-line block ×3, first 2 shown]
	v_mul_f16_e32 v137, 0xbbeb, v136
	v_sub_f16_e32 v126, v147, v152
	v_fma_f16 v142, v122, s15, -v137
	v_add_f16_e32 v130, v142, v130
	v_mul_f16_e32 v142, 0xbbeb, v126
	v_fma_f16 v137, v122, s15, v137
	v_add_f16_e32 v129, v137, v129
	v_fma_f16 v137, v124, s15, -v142
	v_add_f16_e32 v131, v137, v131
	v_mul_f16_e32 v137, 0x3482, v136
	v_fma_f16 v147, v124, s15, v142
	v_fma_f16 v142, v122, s19, -v137
	v_add_f16_e32 v134, v142, v134
	v_mul_f16_e32 v142, 0x3482, v126
	v_fma_f16 v137, v122, s19, v137
	v_add_f16_e32 v133, v137, v133
	v_fma_f16 v137, v124, s19, -v142
	v_add_f16_e32 v135, v137, v135
	v_mul_f16_e32 v137, 0x3b47, v136
	v_add_f16_e32 v132, v147, v132
	v_fma_f16 v147, v124, s19, v142
	v_fma_f16 v142, v122, s14, -v137
	v_add_f16_e32 v142, v142, v146
	v_mul_f16_e32 v146, 0x3b47, v126
	v_fma_f16 v137, v122, s14, v137
	v_add_f16_e32 v137, v137, v143
	v_fma_f16 v143, v124, s14, -v146
	v_add_f16_e32 v143, v143, v145
	v_mul_f16_e32 v145, 0xb853, v136
	v_add_f16_e32 v144, v147, v144
	v_fma_f16 v147, v124, s14, v146
	v_fma_f16 v146, v122, s4, -v145
	v_fma_f16 v145, v122, s4, v145
	v_mul_f16_e32 v136, 0xba0c, v136
	v_mul_f16_e32 v152, 0xb853, v126
	v_add_f16_e32 v145, v145, v153
	v_fma_f16 v153, v122, s16, -v136
	v_mul_f16_e32 v126, 0xba0c, v126
	v_fma_f16 v122, v122, s16, v136
	v_add_f16_e32 v121, v122, v121
	v_fma_f16 v122, v124, s16, -v126
	v_sub_f16_e32 v136, v138, v141
	v_add_f16_e32 v147, v147, v154
	v_add_f16_e32 v146, v146, v155
	v_fma_f16 v154, v124, s4, v152
	v_fma_f16 v152, v124, s4, -v152
	v_fma_f16 v155, v124, s16, v126
	v_add_f16_e32 v47, v122, v47
	v_add_f16_e32 v122, v148, v151
	;; [unrolled: 1-line block ×3, first 2 shown]
	v_mul_f16_e32 v138, 0xba0c, v136
	v_sub_f16_e32 v126, v148, v151
	v_fma_f16 v141, v122, s16, -v138
	v_add_f16_e32 v130, v141, v130
	v_mul_f16_e32 v141, 0xba0c, v126
	v_fma_f16 v138, v122, s16, v138
	v_add_f16_e32 v129, v138, v129
	v_fma_f16 v138, v124, s16, -v141
	v_add_f16_e32 v131, v138, v131
	v_mul_f16_e32 v138, 0x3beb, v136
	v_fma_f16 v148, v124, s16, v141
	v_fma_f16 v141, v122, s15, -v138
	v_add_f16_e32 v134, v141, v134
	v_mul_f16_e32 v141, 0x3beb, v126
	v_fma_f16 v138, v122, s15, v138
	v_add_f16_e32 v133, v138, v133
	v_fma_f16 v138, v124, s15, -v141
	v_add_f16_e32 v135, v138, v135
	v_mul_f16_e32 v138, 0xb853, v136
	v_add_f16_e32 v132, v148, v132
	v_fma_f16 v148, v124, s15, v141
	v_fma_f16 v141, v122, s4, -v138
	v_add_f16_e32 v141, v141, v142
	v_mul_f16_e32 v142, 0xb853, v126
	v_fma_f16 v138, v122, s4, v138
	v_add_f16_e32 v144, v148, v144
	v_fma_f16 v148, v124, s4, v142
	v_add_f16_e32 v137, v138, v137
	v_fma_f16 v138, v124, s4, -v142
	v_mul_f16_e32 v142, 0xb482, v136
	v_add_f16_e32 v138, v138, v143
	v_fma_f16 v143, v122, s19, -v142
	v_add_f16_e32 v143, v143, v146
	v_mul_f16_e32 v146, 0xb482, v126
	v_fma_f16 v142, v122, s19, v142
	v_mul_f16_e32 v136, 0x3b47, v136
	v_add_f16_e32 v147, v148, v147
	v_fma_f16 v148, v124, s19, v146
	v_add_f16_e32 v142, v142, v145
	v_fma_f16 v145, v124, s19, -v146
	v_fma_f16 v146, v122, s14, -v136
	v_mul_f16_e32 v126, 0x3b47, v126
	v_fma_f16 v122, v122, s14, v136
	v_add_f16_e32 v121, v122, v121
	v_fma_f16 v122, v124, s14, -v126
	v_sub_f16_e32 v136, v139, v140
	v_fma_f16 v151, v124, s14, v126
	v_add_f16_e32 v47, v122, v47
	v_add_f16_e32 v122, v149, v150
	;; [unrolled: 1-line block ×3, first 2 shown]
	v_mul_f16_e32 v139, 0xb482, v136
	v_sub_f16_e32 v126, v149, v150
	v_fma_f16 v140, v122, s19, -v139
	v_add_f16_e32 v170, v140, v130
	v_mul_f16_e32 v130, 0xb482, v126
	v_fma_f16 v140, v124, s19, v130
	v_add_f16_e32 v171, v140, v132
	v_fma_f16 v132, v122, s19, v139
	v_add_f16_e32 v172, v132, v129
	v_fma_f16 v129, v124, s19, -v130
	v_add_f16_e32 v173, v129, v131
	v_mul_f16_e32 v129, 0x3853, v136
	v_fma_f16 v130, v122, s4, -v129
	v_add_f16_e32 v174, v130, v134
	v_mul_f16_e32 v130, 0x3853, v126
	v_fma_f16 v129, v122, s4, v129
	v_add_f16_e32 v176, v129, v133
	v_fma_f16 v129, v124, s4, -v130
	v_add_f16_e32 v177, v129, v135
	v_mul_f16_e32 v129, 0xba0c, v136
	v_fma_f16 v131, v124, s4, v130
	v_fma_f16 v130, v122, s16, -v129
	v_add_f16_e32 v178, v130, v141
	v_mul_f16_e32 v130, 0xba0c, v126
	v_fma_f16 v129, v122, s16, v129
	v_add_f16_e32 v180, v129, v137
	v_fma_f16 v129, v124, s16, -v130
	v_add_f16_e32 v181, v129, v138
	v_mul_f16_e32 v129, 0x3b47, v136
	v_add_f16_e32 v175, v131, v144
	v_fma_f16 v131, v124, s16, v130
	v_fma_f16 v130, v122, s14, -v129
	v_add_f16_e32 v152, v152, v156
	v_add_f16_e32 v182, v130, v143
	v_mul_f16_e32 v130, 0x3b47, v126
	v_fma_f16 v129, v122, s14, v129
	v_add_f16_e32 v145, v145, v152
	v_add_f16_e32 v184, v129, v142
	v_fma_f16 v129, v124, s14, -v130
	v_add_f16_e32 v157, v157, v161
	v_add_f16_e32 v185, v129, v145
	v_mul_f16_e32 v129, 0xbbeb, v136
	v_add_f16_e32 v159, v159, v162
	v_add_f16_e32 v153, v153, v157
	;; [unrolled: 1-line block ×3, first 2 shown]
	v_fma_f16 v131, v124, s14, v130
	v_fma_f16 v130, v122, s15, -v129
	v_mul_f16_e32 v126, 0xbbeb, v126
	v_fma_f16 v122, v122, s15, v129
	v_add_f16_e32 v158, v158, v160
	v_add_f16_e32 v155, v155, v159
	;; [unrolled: 1-line block ×4, first 2 shown]
	v_fma_f16 v121, v124, s15, -v126
	v_sub_f16_e32 v157, v44, v54
	v_add_f16_e32 v154, v154, v158
	v_add_f16_e32 v151, v151, v155
	v_add_f16_e32 v186, v130, v146
	v_fma_f16 v130, v124, s15, v126
	v_add_f16_e32 v189, v121, v47
	v_add_f16_e32 v134, v55, v128
	v_sub_f16_e32 v139, v55, v128
	v_mul_f16_e32 v47, 0xb853, v157
	v_sub_f16_e32 v160, v45, v53
	v_add_f16_e32 v148, v148, v154
	v_add_f16_e32 v187, v130, v151
	;; [unrolled: 1-line block ×3, first 2 shown]
	v_mul_f16_e32 v129, 0xb853, v139
	v_fma_f16 v121, v134, s4, v47
	v_add_f16_e32 v140, v56, v127
	v_sub_f16_e32 v145, v56, v127
	v_mul_f16_e32 v130, 0xbb47, v160
	v_add_f16_e32 v183, v131, v148
	v_add_f16_e32 v121, v43, v121
	v_fma_f16 v122, v159, s4, -v129
	v_mul_f16_e32 v132, 0xbb47, v157
	v_add_f16_e32 v161, v45, v53
	v_mul_f16_e32 v131, 0xbb47, v145
	v_fma_f16 v133, v140, s14, v130
	v_add_f16_e32 v122, v123, v122
	v_mul_f16_e32 v135, 0xbb47, v139
	v_fma_f16 v124, v134, s14, v132
	v_add_f16_e32 v121, v133, v121
	v_fma_f16 v133, v161, s14, -v131
	v_mul_f16_e32 v137, 0xba0c, v160
	v_add_f16_e32 v124, v43, v124
	v_fma_f16 v126, v159, s14, -v135
	v_add_f16_e32 v122, v133, v122
	v_mul_f16_e32 v141, 0xba0c, v145
	v_fma_f16 v133, v140, s16, v137
	v_add_f16_e32 v126, v123, v126
	v_add_f16_e32 v124, v133, v124
	v_fma_f16 v133, v161, s16, -v141
	v_sub_f16_e32 v162, v46, v52
	v_add_f16_e32 v126, v133, v126
	v_add_f16_e32 v146, v57, v62
	v_sub_f16_e32 v150, v57, v62
	v_mul_f16_e32 v133, 0xbbeb, v162
	v_add_f16_e32 v163, v46, v52
	v_mul_f16_e32 v136, 0xbbeb, v150
	v_fma_f16 v138, v146, s15, v133
	v_add_f16_e32 v121, v138, v121
	v_fma_f16 v138, v163, s15, -v136
	v_mul_f16_e32 v143, 0x3482, v162
	v_add_f16_e32 v122, v138, v122
	v_mul_f16_e32 v147, 0x3482, v150
	v_fma_f16 v138, v146, s19, v143
	v_add_f16_e32 v124, v138, v124
	v_fma_f16 v138, v163, s19, -v147
	v_sub_f16_e32 v164, v48, v51
	v_add_f16_e32 v126, v138, v126
	v_add_f16_e32 v151, v58, v61
	v_sub_f16_e32 v154, v58, v61
	v_mul_f16_e32 v138, 0xba0c, v164
	v_add_f16_e32 v165, v48, v51
	v_mul_f16_e32 v142, 0xba0c, v154
	v_fma_f16 v144, v151, s16, v138
	v_add_f16_e32 v121, v144, v121
	v_fma_f16 v144, v165, s16, -v142
	v_mul_f16_e32 v149, 0x3beb, v164
	v_add_f16_e32 v122, v144, v122
	v_mul_f16_e32 v152, 0x3beb, v154
	v_fma_f16 v144, v151, s15, v149
	v_sub_f16_e32 v166, v49, v50
	v_add_f16_e32 v190, v144, v124
	v_fma_f16 v124, v165, s15, -v152
	v_add_f16_e32 v155, v59, v60
	v_sub_f16_e32 v158, v59, v60
	v_mul_f16_e32 v144, 0xb482, v166
	v_pack_b32_f16 v168, v168, v169
	v_pack_b32_f16 v169, v170, v171
	v_add_f16_e32 v126, v124, v126
	v_add_f16_e32 v167, v49, v50
	v_mul_f16_e32 v148, 0xb482, v158
	v_fma_f16 v124, v155, s19, v144
	ds_write2_b32 v63, v168, v169 offset1:84
	v_pack_b32_f16 v168, v174, v175
	v_pack_b32_f16 v169, v178, v179
	v_add_f16_e32 v121, v124, v121
	v_fma_f16 v124, v167, s19, -v148
	v_mul_f16_e32 v153, 0x3853, v166
	ds_write2_b32 v63, v168, v169 offset0:168 offset1:252
	v_pack_b32_f16 v168, v182, v183
	v_pack_b32_f16 v169, v186, v187
	v_add_f16_e32 v124, v124, v122
	v_mul_f16_e32 v156, 0x3853, v158
	v_fma_f16 v122, v155, s4, v153
	ds_write2_b32 v120, v168, v169 offset0:80 offset1:164
	v_pack_b32_f16 v120, v188, v189
	v_pack_b32_f16 v168, v184, v185
	v_add_f16_e32 v122, v122, v190
	v_fma_f16 v190, v167, s4, -v156
	ds_write2_b32 v125, v120, v168 offset0:120 offset1:204
	v_pack_b32_f16 v120, v180, v181
	v_pack_b32_f16 v125, v176, v177
	v_add_f16_e32 v126, v190, v126
	ds_write2_b32 v119, v120, v125 offset0:160 offset1:244
	v_pack_b32_f16 v119, v172, v173
	ds_write_b32 v63, v119 offset:3360
	s_and_saveexec_b64 s[2:3], vcc
	s_cbranch_execz .LBB0_15
; %bb.14:
	v_mul_f16_e32 v185, 0xb08e, v159
	v_fma_f16 v186, v139, s23, v185
	v_mul_f16_e32 v187, 0xbbad, v161
	v_add_f16_e32 v186, v123, v186
	v_fma_f16 v188, v145, s20, v187
	v_add_f16_e32 v186, v188, v186
	v_mul_f16_e32 v188, 0x36a6, v163
	v_fma_f16 v189, v150, s21, v188
	v_add_f16_e32 v186, v189, v186
	v_mul_f16_e32 v189, 0x3abb, v165
	;; [unrolled: 3-line block ×3, first 2 shown]
	s_movk_i32 s26, 0x3a0c
	v_fma_f16 v191, v158, s26, v190
	v_add_f16_e32 v186, v191, v186
	v_mul_f16_e32 v191, 0xbbeb, v157
	v_fma_f16 v192, v134, s15, v191
	v_mul_f16_e32 v193, 0x3482, v160
	v_add_f16_e32 v192, v43, v192
	v_fma_f16 v194, v140, s19, v193
	v_add_f16_e32 v192, v194, v192
	v_mul_f16_e32 v194, 0x3b47, v162
	v_fma_f16 v195, v146, s14, v194
	v_add_f16_e32 v192, v195, v192
	v_mul_f16_e32 v195, 0xb853, v164
	v_fma_f16 v196, v151, s4, v195
	v_add_f16_e32 v192, v196, v192
	v_mul_f16_e32 v196, 0xba0c, v166
	v_fma_f16 v197, v155, s16, v196
	v_add_f16_e32 v192, v197, v192
	v_mul_f16_e32 v197, 0xb93d, v159
	v_fma_f16 v198, v139, s26, v197
	v_mul_f16_e32 v199, 0xb08e, v161
	v_add_f16_e32 v198, v123, v198
	v_fma_f16 v200, v145, s17, v199
	v_add_f16_e32 v198, v200, v198
	v_mul_f16_e32 v200, 0x3abb, v163
	v_fma_f16 v201, v150, s25, v200
	v_add_f16_e32 v198, v201, v198
	v_mul_f16_e32 v201, 0xbbad, v165
	v_fma_f16 v202, v154, s22, v201
	v_add_f16_e32 v198, v202, v198
	v_mul_f16_e32 v202, 0x36a6, v167
	;; [unrolled: 15-line block ×3, first 2 shown]
	v_mul_f16_e32 v120, 0x3abb, v159
	v_mul_f16_e32 v168, 0x36a6, v159
	v_fma_f16 v209, v155, s14, v208
	v_mul_f16_e32 v159, 0xbbad, v159
	v_mul_f16_e32 v170, 0x36a6, v161
	v_mul_f16_e32 v172, 0xb93d, v161
	v_add_f16_e32 v204, v209, v204
	v_fma_f16 v209, v139, s22, v159
	v_mul_f16_e32 v161, 0x3abb, v161
	v_mul_f16_e32 v174, 0xb08e, v163
	v_mul_f16_e32 v176, 0xbbad, v163
	v_add_f16_e32 v209, v123, v209
	;; [unrolled: 5-line block ×4, first 2 shown]
	v_fma_f16 v210, v154, s21, v165
	v_mul_f16_e32 v167, 0xb08e, v167
	v_add_f16_e32 v209, v210, v209
	v_fma_f16 v210, v158, s23, v167
	v_mul_f16_e32 v157, 0xb482, v157
	v_add_f16_e32 v209, v210, v209
	v_fma_f16 v210, v134, s19, v157
	v_mul_f16_e32 v160, 0x3853, v160
	v_fma_f16 v157, v134, s19, -v157
	v_fma_f16 v211, v140, s4, v160
	v_mul_f16_e32 v162, 0xba0c, v162
	v_fma_f16 v159, v139, s20, v159
	v_add_f16_e32 v157, v43, v157
	v_fma_f16 v160, v140, s4, -v160
	v_mul_f16_e32 v164, 0x3b47, v164
	v_add_f16_e32 v159, v123, v159
	v_fma_f16 v161, v145, s25, v161
	v_add_f16_e32 v157, v160, v157
	v_fma_f16 v160, v146, s16, -v162
	v_mul_f16_e32 v166, 0xbbeb, v166
	v_add_f16_e32 v159, v161, v159
	v_fma_f16 v161, v150, s18, v163
	v_add_f16_e32 v157, v160, v157
	v_fma_f16 v160, v151, s14, -v164
	v_add_f16_e32 v159, v161, v159
	v_fma_f16 v161, v154, s24, v165
	v_add_f16_e32 v157, v160, v157
	v_fma_f16 v160, v155, s15, -v166
	v_add_f16_e32 v159, v161, v159
	v_fma_f16 v161, v158, s17, v167
	v_add_f16_e32 v157, v160, v157
	v_fma_f16 v160, v139, s18, v197
	v_add_f16_e32 v159, v161, v159
	v_add_f16_e32 v160, v123, v160
	v_fma_f16 v161, v145, s23, v199
	v_add_f16_e32 v160, v161, v160
	v_fma_f16 v161, v150, s5, v200
	v_add_f16_e32 v160, v161, v160
	v_fma_f16 v161, v154, s20, v201
	v_mul_f16_e32 v119, 0x3abb, v134
	v_mul_f16_e32 v125, 0x36a6, v134
	v_add_f16_e32 v160, v161, v160
	v_fma_f16 v161, v158, s24, v202
	v_add_f16_e32 v160, v161, v160
	v_fma_f16 v161, v134, s16, -v203
	v_fma_f16 v134, v134, s15, -v191
	v_sub_f16_e32 v125, v125, v132
	v_sub_f16_e32 v47, v119, v47
	v_add_f16_e32 v210, v43, v210
	v_add_f16_e32 v161, v43, v161
	;; [unrolled: 1-line block ×9, first 2 shown]
	v_mul_f16_e32 v169, 0x36a6, v140
	v_mul_f16_e32 v171, 0xb93d, v140
	v_add_f16_e32 v210, v211, v210
	v_fma_f16 v211, v146, s16, v162
	v_fma_f16 v162, v140, s15, -v205
	v_fma_f16 v140, v140, s19, -v193
	v_add_f16_e32 v43, v43, v57
	v_add_f16_e32 v44, v44, v46
	v_add_f16_e32 v134, v140, v134
	v_fma_f16 v140, v146, s14, -v194
	v_add_f16_e32 v43, v43, v58
	v_add_f16_e32 v44, v44, v48
	v_add_f16_e32 v134, v140, v134
	;; [unrolled: 4-line block ×3, first 2 shown]
	v_mul_f16_e32 v173, 0xb08e, v146
	v_fma_f16 v139, v139, s17, v185
	v_add_f16_e32 v134, v140, v134
	v_fma_f16 v140, v155, s16, -v196
	v_add_f16_e32 v135, v135, v168
	v_add_f16_e32 v120, v123, v120
	;; [unrolled: 1-line block ×3, first 2 shown]
	v_sub_f16_e32 v119, v169, v130
	v_add_f16_e32 v43, v43, v60
	v_add_f16_e32 v44, v44, v50
	v_mul_f16_e32 v175, 0xbbad, v146
	v_mul_f16_e32 v177, 0xb93d, v151
	v_add_f16_e32 v139, v123, v139
	v_fma_f16 v145, v145, s22, v187
	v_add_f16_e32 v134, v140, v134
	v_add_f16_e32 v135, v123, v135
	;; [unrolled: 1-line block ×3, first 2 shown]
	v_sub_f16_e32 v132, v171, v137
	v_add_f16_e32 v120, v129, v120
	v_add_f16_e32 v129, v136, v174
	;; [unrolled: 1-line block ×3, first 2 shown]
	v_sub_f16_e32 v119, v173, v133
	v_add_f16_e32 v43, v43, v61
	v_add_f16_e32 v44, v44, v51
	v_mul_f16_e32 v179, 0xb08e, v151
	v_mul_f16_e32 v181, 0xbbad, v155
	v_add_f16_e32 v139, v145, v139
	v_fma_f16 v145, v150, s24, v188
	v_add_f16_e32 v135, v140, v135
	v_add_f16_e32 v140, v147, v176
	;; [unrolled: 1-line block ×3, first 2 shown]
	v_sub_f16_e32 v132, v175, v143
	v_add_f16_e32 v120, v129, v120
	v_add_f16_e32 v129, v142, v178
	;; [unrolled: 1-line block ×3, first 2 shown]
	v_sub_f16_e32 v119, v177, v138
	v_add_f16_e32 v43, v43, v62
	v_add_f16_e32 v44, v44, v52
	v_mul_f16_e32 v183, 0x3abb, v155
	v_add_f16_e32 v161, v162, v161
	v_fma_f16 v162, v146, s4, -v206
	v_add_f16_e32 v139, v145, v139
	v_fma_f16 v145, v154, s5, v189
	v_add_f16_e32 v135, v140, v135
	v_add_f16_e32 v140, v152, v180
	;; [unrolled: 1-line block ×3, first 2 shown]
	v_sub_f16_e32 v132, v179, v149
	v_add_f16_e32 v120, v129, v120
	v_add_f16_e32 v129, v148, v182
	;; [unrolled: 1-line block ×3, first 2 shown]
	v_sub_f16_e32 v119, v181, v144
	v_add_f16_e32 v43, v43, v127
	v_add_f16_e32 v44, v44, v53
	v_add_f16_e32 v161, v162, v161
	v_fma_f16 v162, v151, s19, -v207
	v_add_f16_e32 v139, v145, v139
	v_fma_f16 v145, v158, s18, v190
	v_add_f16_e32 v135, v140, v135
	v_add_f16_e32 v140, v156, v184
	;; [unrolled: 1-line block ×3, first 2 shown]
	v_sub_f16_e32 v132, v183, v153
	v_add_f16_e32 v120, v129, v120
	v_add_f16_e32 v47, v119, v47
	;; [unrolled: 1-line block ×5, first 2 shown]
	v_fma_f16 v211, v151, s14, v164
	v_add_f16_e32 v161, v162, v161
	v_fma_f16 v162, v155, s14, -v208
	v_add_f16_e32 v139, v145, v139
	v_add_f16_e32 v135, v140, v135
	;; [unrolled: 1-line block ×3, first 2 shown]
	v_pack_b32_f16 v43, v43, v44
	v_pack_b32_f16 v44, v47, v120
	v_add_f16_e32 v210, v211, v210
	v_fma_f16 v211, v155, s15, v166
	v_add_f16_e32 v161, v162, v161
	ds_write2_b32 v63, v43, v44 offset0:44 offset1:128
	v_pack_b32_f16 v43, v125, v135
	v_pack_b32_f16 v44, v134, v139
	v_add_u32_e32 v45, 0x200, v63
	v_add_f16_e32 v210, v211, v210
	ds_write2_b32 v45, v43, v44 offset0:84 offset1:168
	v_pack_b32_f16 v43, v161, v160
	v_pack_b32_f16 v44, v157, v159
	v_add_u32_e32 v45, 0x400, v63
	ds_write2_b32 v45, v43, v44 offset0:124 offset1:208
	v_pack_b32_f16 v43, v210, v209
	v_pack_b32_f16 v44, v204, v198
	v_add_u32_e32 v45, 0x800, v63
	s_mov_b32 s4, 0x5040100
	ds_write2_b32 v45, v43, v44 offset0:36 offset1:120
	v_pack_b32_f16 v43, v192, v186
	v_perm_b32 v44, v126, v122, s4
	v_add_u32_e32 v45, 0xa00, v63
	ds_write2_b32 v45, v43, v44 offset0:76 offset1:160
	v_perm_b32 v43, v124, v121, s4
	ds_write_b32 v63, v43 offset:3536
.LBB0_15:
	s_or_b64 exec, exec, s[2:3]
	s_waitcnt lgkmcnt(0)
	; wave barrier
	s_waitcnt lgkmcnt(0)
	global_load_dword v47, v[28:29], off offset:3696
	s_add_u32 s2, s12, 0xe70
	s_addc_u32 s3, s13, 0
	global_load_dword v48, v63, s[2:3] offset:176
	global_load_dword v55, v63, s[2:3] offset:1848
	;; [unrolled: 1-line block ×9, first 2 shown]
	ds_read2_b32 v[45:46], v63 offset1:44
	global_load_dword v120, v63, s[2:3] offset:2728
	global_load_dword v123, v63, s[2:3] offset:880
	;; [unrolled: 1-line block ×10, first 2 shown]
	v_add_u32_e32 v43, 0x400, v63
	v_add_u32_e32 v44, 0x800, v63
	;; [unrolled: 1-line block ×3, first 2 shown]
	s_waitcnt lgkmcnt(0)
	v_lshrrev_b32_e32 v49, 16, v45
	v_lshrrev_b32_e32 v50, 16, v46
	s_waitcnt vmcnt(19)
	v_mul_f16_sdwa v51, v49, v47 dst_sel:DWORD dst_unused:UNUSED_PAD src0_sel:DWORD src1_sel:WORD_1
	v_mul_f16_sdwa v52, v45, v47 dst_sel:DWORD dst_unused:UNUSED_PAD src0_sel:DWORD src1_sel:WORD_1
	v_fma_f16 v45, v45, v47, -v51
	v_fma_f16 v47, v49, v47, v52
	v_pack_b32_f16 v45, v45, v47
	s_waitcnt vmcnt(18)
	v_mul_f16_sdwa v47, v50, v48 dst_sel:DWORD dst_unused:UNUSED_PAD src0_sel:DWORD src1_sel:WORD_1
	ds_write_b32 v63, v45
	v_mul_f16_sdwa v49, v46, v48 dst_sel:DWORD dst_unused:UNUSED_PAD src0_sel:DWORD src1_sel:WORD_1
	v_fma_f16 v47, v46, v48, -v47
	ds_read2_b32 v[45:46], v43 offset0:206 offset1:250
	v_fma_f16 v48, v50, v48, v49
	v_pack_b32_f16 v134, v47, v48
	ds_read2_b32 v[47:48], v63 offset0:88 offset1:132
	ds_read2_b32 v[49:50], v44 offset0:38 offset1:82
	;; [unrolled: 1-line block ×4, first 2 shown]
	s_waitcnt lgkmcnt(4)
	v_lshrrev_b32_e32 v135, 16, v45
	s_waitcnt vmcnt(17)
	v_mul_f16_sdwa v136, v45, v55 dst_sel:DWORD dst_unused:UNUSED_PAD src0_sel:DWORD src1_sel:WORD_1
	v_lshrrev_b32_e32 v137, 16, v46
	s_waitcnt vmcnt(16)
	v_mul_f16_sdwa v138, v46, v56 dst_sel:DWORD dst_unused:UNUSED_PAD src0_sel:DWORD src1_sel:WORD_1
	s_waitcnt lgkmcnt(3)
	v_lshrrev_b32_e32 v139, 16, v47
	s_waitcnt vmcnt(15)
	v_mul_f16_sdwa v140, v47, v57 dst_sel:DWORD dst_unused:UNUSED_PAD src0_sel:DWORD src1_sel:WORD_1
	s_waitcnt lgkmcnt(2)
	v_lshrrev_b32_e32 v141, 16, v49
	s_waitcnt vmcnt(14)
	v_mul_f16_sdwa v142, v49, v58 dst_sel:DWORD dst_unused:UNUSED_PAD src0_sel:DWORD src1_sel:WORD_1
	v_lshrrev_b32_e32 v143, 16, v48
	s_waitcnt vmcnt(13)
	v_mul_f16_sdwa v144, v48, v59 dst_sel:DWORD dst_unused:UNUSED_PAD src0_sel:DWORD src1_sel:WORD_1
	v_lshrrev_b32_e32 v145, 16, v50
	s_waitcnt vmcnt(12)
	v_mul_f16_sdwa v146, v50, v60 dst_sel:DWORD dst_unused:UNUSED_PAD src0_sel:DWORD src1_sel:WORD_1
	s_waitcnt lgkmcnt(1)
	v_lshrrev_b32_e32 v147, 16, v51
	v_mul_f16_sdwa v150, v135, v55 dst_sel:DWORD dst_unused:UNUSED_PAD src0_sel:DWORD src1_sel:WORD_1
	v_fma_f16 v135, v135, v55, v136
	v_mul_f16_sdwa v136, v137, v56 dst_sel:DWORD dst_unused:UNUSED_PAD src0_sel:DWORD src1_sel:WORD_1
	v_fma_f16 v137, v137, v56, v138
	v_mul_f16_sdwa v138, v139, v57 dst_sel:DWORD dst_unused:UNUSED_PAD src0_sel:DWORD src1_sel:WORD_1
	s_waitcnt vmcnt(11)
	v_mul_f16_sdwa v148, v51, v61 dst_sel:DWORD dst_unused:UNUSED_PAD src0_sel:DWORD src1_sel:WORD_1
	v_fma_f16 v139, v139, v57, v140
	v_mul_f16_sdwa v140, v141, v58 dst_sel:DWORD dst_unused:UNUSED_PAD src0_sel:DWORD src1_sel:WORD_1
	v_fma_f16 v141, v141, v58, v142
	;; [unrolled: 2-line block ×4, first 2 shown]
	v_mul_f16_sdwa v146, v147, v61 dst_sel:DWORD dst_unused:UNUSED_PAD src0_sel:DWORD src1_sel:WORD_1
	v_fma_f16 v45, v45, v55, -v150
	v_fma_f16 v46, v46, v56, -v136
	;; [unrolled: 1-line block ×3, first 2 shown]
	s_waitcnt lgkmcnt(0)
	v_lshrrev_b32_e32 v149, 16, v53
	v_fma_f16 v147, v147, v61, v148
	v_fma_f16 v49, v49, v58, -v140
	v_fma_f16 v48, v48, v59, -v142
	;; [unrolled: 1-line block ×4, first 2 shown]
	v_pack_b32_f16 v56, v45, v135
	v_pack_b32_f16 v45, v46, v137
	;; [unrolled: 1-line block ×3, first 2 shown]
	s_waitcnt vmcnt(10)
	v_mul_f16_sdwa v148, v149, v62 dst_sel:DWORD dst_unused:UNUSED_PAD src0_sel:DWORD src1_sel:WORD_1
	v_pack_b32_f16 v47, v49, v141
	v_pack_b32_f16 v48, v48, v143
	;; [unrolled: 1-line block ×4, first 2 shown]
	ds_write2_b32 v63, v134, v46 offset0:44 offset1:88
	ds_write2_b32 v119, v45, v47 offset0:122 offset1:166
	;; [unrolled: 1-line block ×3, first 2 shown]
	v_mul_f16_sdwa v45, v53, v62 dst_sel:DWORD dst_unused:UNUSED_PAD src0_sel:DWORD src1_sel:WORD_1
	v_fma_f16 v55, v53, v62, -v148
	v_fma_f16 v45, v149, v62, v45
	v_pack_b32_f16 v45, v55, v45
	ds_write2_b32 v44, v49, v45 offset0:82 offset1:126
	v_lshrrev_b32_e32 v45, 16, v52
	s_waitcnt vmcnt(8)
	v_mul_f16_sdwa v46, v45, v123 dst_sel:DWORD dst_unused:UNUSED_PAD src0_sel:DWORD src1_sel:WORD_1
	v_mul_f16_sdwa v47, v52, v123 dst_sel:DWORD dst_unused:UNUSED_PAD src0_sel:DWORD src1_sel:WORD_1
	v_fma_f16 v46, v52, v123, -v46
	v_fma_f16 v45, v45, v123, v47
	v_pack_b32_f16 v49, v46, v45
	ds_read2_b32 v[45:46], v43 offset0:8 offset1:52
	v_lshrrev_b32_e32 v47, 16, v54
	v_mul_f16_sdwa v48, v47, v120 dst_sel:DWORD dst_unused:UNUSED_PAD src0_sel:DWORD src1_sel:WORD_1
	v_mul_f16_sdwa v50, v54, v120 dst_sel:DWORD dst_unused:UNUSED_PAD src0_sel:DWORD src1_sel:WORD_1
	v_fma_f16 v48, v54, v120, -v48
	v_fma_f16 v47, v47, v120, v50
	s_waitcnt lgkmcnt(0)
	v_lshrrev_b32_e32 v51, 16, v45
	v_pack_b32_f16 v50, v48, v47
	s_waitcnt vmcnt(7)
	v_mul_f16_sdwa v47, v51, v125 dst_sel:DWORD dst_unused:UNUSED_PAD src0_sel:DWORD src1_sel:WORD_1
	v_add_u32_e32 v59, 0xa00, v63
	v_fma_f16 v52, v45, v125, -v47
	ds_read2_b32 v[47:48], v59 offset0:86 offset1:130
	v_mul_f16_sdwa v45, v45, v125 dst_sel:DWORD dst_unused:UNUSED_PAD src0_sel:DWORD src1_sel:WORD_1
	v_fma_f16 v45, v51, v125, v45
	v_pack_b32_f16 v45, v52, v45
	v_add_u32_e32 v51, 0x200, v63
	ds_write2_b32 v51, v49, v45 offset0:92 offset1:136
	s_waitcnt lgkmcnt(1)
	v_lshrrev_b32_e32 v45, 16, v47
	s_waitcnt vmcnt(3)
	v_mul_f16_sdwa v49, v45, v130 dst_sel:DWORD dst_unused:UNUSED_PAD src0_sel:DWORD src1_sel:WORD_1
	v_fma_f16 v49, v47, v130, -v49
	v_mul_f16_sdwa v47, v47, v130 dst_sel:DWORD dst_unused:UNUSED_PAD src0_sel:DWORD src1_sel:WORD_1
	v_fma_f16 v45, v45, v130, v47
	v_pack_b32_f16 v45, v49, v45
	ds_write2_b32 v44, v50, v45 offset0:170 offset1:214
	v_lshrrev_b32_e32 v45, 16, v46
	v_mul_f16_sdwa v47, v45, v127 dst_sel:DWORD dst_unused:UNUSED_PAD src0_sel:DWORD src1_sel:WORD_1
	v_fma_f16 v47, v46, v127, -v47
	v_mul_f16_sdwa v46, v46, v127 dst_sel:DWORD dst_unused:UNUSED_PAD src0_sel:DWORD src1_sel:WORD_1
	v_fma_f16 v45, v45, v127, v46
	v_pack_b32_f16 v49, v47, v45
	ds_read2_b32 v[45:46], v43 offset0:96 offset1:140
	v_lshrrev_b32_e32 v47, 16, v48
	s_waitcnt vmcnt(2)
	v_mul_f16_sdwa v50, v47, v131 dst_sel:DWORD dst_unused:UNUSED_PAD src0_sel:DWORD src1_sel:WORD_1
	v_fma_f16 v50, v48, v131, -v50
	v_mul_f16_sdwa v48, v48, v131 dst_sel:DWORD dst_unused:UNUSED_PAD src0_sel:DWORD src1_sel:WORD_1
	v_fma_f16 v47, v47, v131, v48
	s_waitcnt lgkmcnt(0)
	v_lshrrev_b32_e32 v51, 16, v45
	v_pack_b32_f16 v50, v50, v47
	v_mul_f16_sdwa v47, v51, v128 dst_sel:DWORD dst_unused:UNUSED_PAD src0_sel:DWORD src1_sel:WORD_1
	v_add_u32_e32 v61, 0xc00, v63
	v_fma_f16 v52, v45, v128, -v47
	ds_read2_b32 v[47:48], v61 offset0:46 offset1:90
	v_mul_f16_sdwa v45, v45, v128 dst_sel:DWORD dst_unused:UNUSED_PAD src0_sel:DWORD src1_sel:WORD_1
	v_fma_f16 v45, v51, v128, v45
	v_pack_b32_f16 v45, v52, v45
	ds_write2_b32 v43, v49, v45 offset0:52 offset1:96
	s_waitcnt lgkmcnt(1)
	v_lshrrev_b32_e32 v45, 16, v47
	s_waitcnt vmcnt(1)
	v_mul_f16_sdwa v49, v45, v132 dst_sel:DWORD dst_unused:UNUSED_PAD src0_sel:DWORD src1_sel:WORD_1
	v_fma_f16 v49, v47, v132, -v49
	v_mul_f16_sdwa v47, v47, v132 dst_sel:DWORD dst_unused:UNUSED_PAD src0_sel:DWORD src1_sel:WORD_1
	v_fma_f16 v45, v45, v132, v47
	v_pack_b32_f16 v45, v49, v45
	ds_write2_b32 v61, v50, v45 offset0:2 offset1:46
	v_lshrrev_b32_e32 v45, 16, v46
	v_mul_f16_sdwa v47, v45, v129 dst_sel:DWORD dst_unused:UNUSED_PAD src0_sel:DWORD src1_sel:WORD_1
	v_fma_f16 v47, v46, v129, -v47
	v_mul_f16_sdwa v46, v46, v129 dst_sel:DWORD dst_unused:UNUSED_PAD src0_sel:DWORD src1_sel:WORD_1
	v_fma_f16 v45, v45, v129, v46
	v_pack_b32_f16 v45, v47, v45
	ds_write2_b32 v43, v45, v56 offset0:140 offset1:206
	v_lshrrev_b32_e32 v45, 16, v48
	s_waitcnt vmcnt(0)
	v_mul_f16_sdwa v46, v45, v133 dst_sel:DWORD dst_unused:UNUSED_PAD src0_sel:DWORD src1_sel:WORD_1
	v_mul_f16_sdwa v47, v48, v133 dst_sel:DWORD dst_unused:UNUSED_PAD src0_sel:DWORD src1_sel:WORD_1
	v_fma_f16 v46, v48, v133, -v46
	v_fma_f16 v45, v45, v133, v47
	v_pack_b32_f16 v45, v46, v45
	ds_write_b32 v63, v45 offset:3432
	s_and_saveexec_b64 s[4:5], s[0:1]
	s_cbranch_execz .LBB0_17
; %bb.16:
	v_mov_b32_e32 v46, s3
	v_add_co_u32_e64 v45, s[2:3], s2, v63
	v_addc_co_u32_e64 v46, s[2:3], 0, v46, s[2:3]
	global_load_dword v47, v[45:46], off offset:1760
	global_load_dword v48, v[45:46], off offset:3608
	ds_read_b32 v45, v63 offset:1760
	ds_read_b32 v46, v63 offset:3608
	s_waitcnt lgkmcnt(1)
	v_lshrrev_b32_e32 v49, 16, v45
	s_waitcnt lgkmcnt(0)
	v_lshrrev_b32_e32 v50, 16, v46
	s_waitcnt vmcnt(1)
	v_mul_f16_sdwa v51, v49, v47 dst_sel:DWORD dst_unused:UNUSED_PAD src0_sel:DWORD src1_sel:WORD_1
	v_mul_f16_sdwa v52, v45, v47 dst_sel:DWORD dst_unused:UNUSED_PAD src0_sel:DWORD src1_sel:WORD_1
	s_waitcnt vmcnt(0)
	v_mul_f16_sdwa v53, v50, v48 dst_sel:DWORD dst_unused:UNUSED_PAD src0_sel:DWORD src1_sel:WORD_1
	v_mul_f16_sdwa v54, v46, v48 dst_sel:DWORD dst_unused:UNUSED_PAD src0_sel:DWORD src1_sel:WORD_1
	v_fma_f16 v45, v45, v47, -v51
	v_fma_f16 v47, v49, v47, v52
	v_fma_f16 v46, v46, v48, -v53
	v_fma_f16 v48, v50, v48, v54
	v_pack_b32_f16 v45, v45, v47
	v_pack_b32_f16 v46, v46, v48
	ds_write_b32 v63, v45 offset:1760
	ds_write_b32 v63, v46 offset:3608
.LBB0_17:
	s_or_b64 exec, exec, s[4:5]
	s_waitcnt lgkmcnt(0)
	; wave barrier
	s_waitcnt lgkmcnt(0)
	ds_read2_b32 v[51:52], v63 offset1:44
	ds_read2_b32 v[53:54], v43 offset0:206 offset1:250
	ds_read2_b32 v[49:50], v63 offset0:88 offset1:132
	;; [unrolled: 1-line block ×9, first 2 shown]
	v_lshlrev_b32_e32 v125, 2, v101
	v_lshlrev_b32_e32 v123, 2, v104
	;; [unrolled: 1-line block ×3, first 2 shown]
	s_and_saveexec_b64 s[2:3], s[0:1]
	s_cbranch_execz .LBB0_19
; %bb.18:
	ds_read_b32 v122, v63 offset:1760
	ds_read_b32 v121, v63 offset:3608
	s_waitcnt lgkmcnt(1)
	v_lshrrev_b32_e32 v126, 16, v122
	s_waitcnt lgkmcnt(0)
	v_lshrrev_b32_e32 v124, 16, v121
.LBB0_19:
	s_or_b64 exec, exec, s[2:3]
	s_waitcnt lgkmcnt(8)
	v_pk_add_f16 v127, v51, v53 neg_lo:[0,1] neg_hi:[0,1]
	v_pk_add_f16 v53, v52, v54 neg_lo:[0,1] neg_hi:[0,1]
	v_sub_f16_e32 v119, v126, v124
	s_waitcnt lgkmcnt(6)
	v_pk_add_f16 v54, v49, v55 neg_lo:[0,1] neg_hi:[0,1]
	v_fma_f16 v104, v126, 2.0, -v119
	v_pk_fma_f16 v126, v51, 2.0, v127 op_sel_hi:[1,0,1] neg_lo:[0,0,1] neg_hi:[0,0,1]
	v_pk_fma_f16 v52, v52, 2.0, v53 op_sel_hi:[1,0,1] neg_lo:[0,0,1] neg_hi:[0,0,1]
	v_pk_add_f16 v55, v50, v56 neg_lo:[0,1] neg_hi:[0,1]
	s_waitcnt lgkmcnt(0)
	; wave barrier
	s_waitcnt lgkmcnt(0)
	ds_write_b64 v87, v[126:127]
	ds_write_b64 v88, v[52:53]
	v_pk_fma_f16 v53, v49, 2.0, v54 op_sel_hi:[1,0,1] neg_lo:[0,0,1] neg_hi:[0,0,1]
	v_pk_add_f16 v56, v47, v57 neg_lo:[0,1] neg_hi:[0,1]
	ds_write_b64 v89, v[53:54]
	v_pk_fma_f16 v54, v50, 2.0, v55 op_sel_hi:[1,0,1] neg_lo:[0,0,1] neg_hi:[0,0,1]
	v_pk_add_f16 v57, v48, v58 neg_lo:[0,1] neg_hi:[0,1]
	;; [unrolled: 3-line block ×6, first 2 shown]
	v_sub_f16_e32 v108, v122, v121
	ds_write_b64 v125, v[58:59]
	v_pk_fma_f16 v59, v43, 2.0, v60 op_sel_hi:[1,0,1] neg_lo:[0,0,1] neg_hi:[0,0,1]
	v_fma_f16 v101, v122, 2.0, -v108
	ds_write_b64 v123, v[59:60]
	v_pk_fma_f16 v60, v44, 2.0, v61 op_sel_hi:[1,0,1] neg_lo:[0,0,1] neg_hi:[0,0,1]
	ds_write_b64 v120, v[60:61]
	s_and_saveexec_b64 s[2:3], s[0:1]
	s_cbranch_execz .LBB0_21
; %bb.20:
	s_mov_b32 s4, 0x5040100
	v_perm_b32 v44, v119, v108, s4
	v_perm_b32 v43, v104, v101, s4
	ds_write_b64 v92, v[43:44]
.LBB0_21:
	s_or_b64 exec, exec, s[2:3]
	v_add_u32_e32 v43, 0x400, v63
	v_add_u32_e32 v44, 0x800, v63
	s_waitcnt lgkmcnt(0)
	; wave barrier
	s_waitcnt lgkmcnt(0)
	ds_read2_b32 v[51:52], v63 offset1:44
	ds_read2_b32 v[61:62], v43 offset0:206 offset1:250
	ds_read2_b32 v[49:50], v63 offset0:88 offset1:132
	;; [unrolled: 1-line block ×6, first 2 shown]
	v_add_u32_e32 v44, 0xa00, v63
	v_add_u32_e32 v53, 0xc00, v63
	ds_read2_b32 v[55:56], v44 offset0:86 offset1:130
	ds_read2_b32 v[43:44], v43 offset0:96 offset1:140
	;; [unrolled: 1-line block ×3, first 2 shown]
	s_and_saveexec_b64 s[2:3], s[0:1]
	s_cbranch_execz .LBB0_23
; %bb.22:
	ds_read_b32 v101, v63 offset:1760
	ds_read_b32 v108, v63 offset:3608
	s_waitcnt lgkmcnt(1)
	v_lshrrev_b32_e32 v104, 16, v101
	s_waitcnt lgkmcnt(0)
	v_lshrrev_b32_e32 v119, 16, v108
.LBB0_23:
	s_or_b64 exec, exec, s[2:3]
	s_waitcnt lgkmcnt(8)
	v_lshrrev_b32_e32 v88, 16, v61
	v_mul_f16_sdwa v132, v86, v88 dst_sel:DWORD dst_unused:UNUSED_PAD src0_sel:WORD_1 src1_sel:DWORD
	v_lshrrev_b32_e32 v90, 16, v62
	v_fma_f16 v132, v86, v61, v132
	v_mul_f16_sdwa v61, v86, v61 dst_sel:DWORD dst_unused:UNUSED_PAD src0_sel:WORD_1 src1_sel:DWORD
	v_fma_f16 v61, v86, v88, -v61
	v_mul_f16_sdwa v88, v86, v90 dst_sel:DWORD dst_unused:UNUSED_PAD src0_sel:WORD_1 src1_sel:DWORD
	s_waitcnt lgkmcnt(6)
	v_lshrrev_b32_e32 v92, 16, v59
	v_fma_f16 v88, v86, v62, v88
	v_mul_f16_sdwa v62, v86, v62 dst_sel:DWORD dst_unused:UNUSED_PAD src0_sel:WORD_1 src1_sel:DWORD
	v_fma_f16 v62, v86, v90, -v62
	v_mul_f16_sdwa v90, v86, v92 dst_sel:DWORD dst_unused:UNUSED_PAD src0_sel:WORD_1 src1_sel:DWORD
	v_lshrrev_b32_e32 v94, 16, v60
	v_fma_f16 v90, v86, v59, v90
	v_mul_f16_sdwa v59, v86, v59 dst_sel:DWORD dst_unused:UNUSED_PAD src0_sel:WORD_1 src1_sel:DWORD
	v_fma_f16 v59, v86, v92, -v59
	v_mul_f16_sdwa v92, v86, v94 dst_sel:DWORD dst_unused:UNUSED_PAD src0_sel:WORD_1 src1_sel:DWORD
	s_waitcnt lgkmcnt(4)
	v_lshrrev_b32_e32 v121, 16, v57
	v_fma_f16 v92, v86, v60, v92
	v_mul_f16_sdwa v60, v86, v60 dst_sel:DWORD dst_unused:UNUSED_PAD src0_sel:WORD_1 src1_sel:DWORD
	v_fma_f16 v60, v86, v94, -v60
	;; [unrolled: 11-line block ×4, first 2 shown]
	v_mul_f16_sdwa v127, v86, v129 dst_sel:DWORD dst_unused:UNUSED_PAD src0_sel:WORD_1 src1_sel:DWORD
	v_lshrrev_b32_e32 v131, 16, v54
	v_fma_f16 v127, v86, v53, v127
	v_mul_f16_sdwa v53, v86, v53 dst_sel:DWORD dst_unused:UNUSED_PAD src0_sel:WORD_1 src1_sel:DWORD
	v_fma_f16 v53, v86, v129, -v53
	v_mul_f16_sdwa v129, v86, v131 dst_sel:DWORD dst_unused:UNUSED_PAD src0_sel:WORD_1 src1_sel:DWORD
	v_fma_f16 v129, v86, v54, v129
	v_mul_f16_sdwa v54, v86, v54 dst_sel:DWORD dst_unused:UNUSED_PAD src0_sel:WORD_1 src1_sel:DWORD
	v_fma_f16 v54, v86, v131, -v54
	v_mul_f16_sdwa v131, v86, v119 dst_sel:DWORD dst_unused:UNUSED_PAD src0_sel:WORD_1 src1_sel:DWORD
	v_lshrrev_b32_e32 v87, 16, v51
	v_fma_f16 v131, v86, v108, v131
	v_mul_f16_sdwa v108, v86, v108 dst_sel:DWORD dst_unused:UNUSED_PAD src0_sel:WORD_1 src1_sel:DWORD
	v_lshrrev_b32_e32 v89, 16, v52
	v_fma_f16 v86, v86, v119, -v108
	v_sub_f16_e32 v108, v51, v132
	v_sub_f16_e32 v61, v87, v61
	v_lshrrev_b32_e32 v91, 16, v49
	v_fma_f16 v51, v51, 2.0, -v108
	v_fma_f16 v87, v87, 2.0, -v61
	v_sub_f16_e32 v88, v52, v88
	v_sub_f16_e32 v62, v89, v62
	v_lshrrev_b32_e32 v93, 16, v50
	v_fma_f16 v52, v52, 2.0, -v88
	v_fma_f16 v89, v89, 2.0, -v62
	v_sub_f16_e32 v90, v49, v90
	v_sub_f16_e32 v59, v91, v59
	v_pack_b32_f16 v51, v51, v87
	v_pack_b32_f16 v61, v108, v61
	v_lshrrev_b32_e32 v120, 16, v47
	v_fma_f16 v49, v49, 2.0, -v90
	v_fma_f16 v91, v91, 2.0, -v59
	v_sub_f16_e32 v92, v50, v92
	v_sub_f16_e32 v60, v93, v60
	s_waitcnt lgkmcnt(0)
	; wave barrier
	ds_write2_b32 v95, v51, v61 offset1:2
	v_pack_b32_f16 v51, v52, v89
	v_pack_b32_f16 v52, v88, v62
	v_lshrrev_b32_e32 v122, 16, v48
	v_fma_f16 v50, v50, 2.0, -v92
	v_fma_f16 v93, v93, 2.0, -v60
	v_sub_f16_e32 v94, v47, v94
	v_sub_f16_e32 v57, v120, v57
	ds_write2_b32 v96, v51, v52 offset1:2
	v_pack_b32_f16 v49, v49, v91
	v_pack_b32_f16 v51, v90, v59
	v_lshrrev_b32_e32 v124, 16, v45
	v_fma_f16 v47, v47, 2.0, -v94
	v_fma_f16 v119, v120, 2.0, -v57
	v_sub_f16_e32 v120, v48, v121
	v_sub_f16_e32 v58, v122, v58
	;; [unrolled: 8-line block ×5, first 2 shown]
	ds_write2_b32 v100, v47, v48 offset1:2
	v_pack_b32_f16 v45, v45, v123
	v_pack_b32_f16 v47, v122, v55
	v_fma_f16 v127, v43, 2.0, -v126
	v_fma_f16 v128, v128, 2.0, -v53
	v_sub_f16_e32 v129, v44, v129
	v_sub_f16_e32 v54, v130, v54
	ds_write2_b32 v102, v45, v47 offset1:2
	v_pack_b32_f16 v45, v46, v125
	v_pack_b32_f16 v46, v124, v56
	v_fma_f16 v132, v44, 2.0, -v129
	v_fma_f16 v130, v130, 2.0, -v54
	ds_write2_b32 v105, v45, v46 offset1:2
	v_pack_b32_f16 v45, v127, v128
	v_pack_b32_f16 v46, v126, v53
	v_sub_f16_e32 v43, v101, v131
	v_sub_f16_e32 v44, v104, v86
	ds_write2_b32 v106, v45, v46 offset1:2
	v_pack_b32_f16 v45, v132, v130
	v_pack_b32_f16 v46, v129, v54
	ds_write2_b32 v107, v45, v46 offset1:2
	s_and_saveexec_b64 s[2:3], s[0:1]
	s_cbranch_execz .LBB0_25
; %bb.24:
	s_movk_i32 s4, 0x3fc
	v_fma_f16 v45, v101, 2.0, -v43
	v_fma_f16 v46, v104, 2.0, -v44
	v_and_or_b32 v47, v103, s4, v85
	s_mov_b32 s4, 0x5040100
	v_lshlrev_b32_e32 v47, 2, v47
	v_pack_b32_f16 v45, v45, v46
	v_perm_b32 v46, v44, v43, s4
	ds_write2_b32 v47, v45, v46 offset1:2
.LBB0_25:
	s_or_b64 exec, exec, s[2:3]
	v_add_u32_e32 v46, 0x400, v63
	s_waitcnt lgkmcnt(0)
	; wave barrier
	s_waitcnt lgkmcnt(0)
	ds_read2_b32 v[49:50], v46 offset0:8 offset1:52
	v_add_u32_e32 v45, 0x800, v63
	ds_read2_b32 v[51:52], v45 offset0:104 offset1:148
	ds_read2_b32 v[53:54], v46 offset0:96 offset1:140
	ds_read2_b32 v[57:58], v45 offset0:192 offset1:236
	s_waitcnt lgkmcnt(3)
	v_lshrrev_b32_e32 v90, 16, v50
	v_mul_f16_sdwa v122, v33, v90 dst_sel:DWORD dst_unused:UNUSED_PAD src0_sel:WORD_1 src1_sel:DWORD
	s_waitcnt lgkmcnt(2)
	v_lshrrev_b32_e32 v91, 16, v51
	v_fma_f16 v122, v33, v50, v122
	v_mul_f16_sdwa v50, v33, v50 dst_sel:DWORD dst_unused:UNUSED_PAD src0_sel:WORD_1 src1_sel:DWORD
	v_fma_f16 v50, v33, v90, -v50
	v_mul_f16_sdwa v90, v34, v91 dst_sel:DWORD dst_unused:UNUSED_PAD src0_sel:WORD_1 src1_sel:DWORD
	s_waitcnt lgkmcnt(1)
	v_lshrrev_b32_e32 v93, 16, v53
	v_fma_f16 v90, v34, v51, v90
	v_mul_f16_sdwa v51, v34, v51 dst_sel:DWORD dst_unused:UNUSED_PAD src0_sel:WORD_1 src1_sel:DWORD
	v_fma_f16 v51, v34, v91, -v51
	v_mul_f16_sdwa v91, v33, v93 dst_sel:DWORD dst_unused:UNUSED_PAD src0_sel:WORD_1 src1_sel:DWORD
	v_lshrrev_b32_e32 v94, 16, v52
	v_fma_f16 v91, v33, v53, v91
	v_mul_f16_sdwa v53, v33, v53 dst_sel:DWORD dst_unused:UNUSED_PAD src0_sel:WORD_1 src1_sel:DWORD
	ds_read2_b32 v[59:60], v46 offset0:184 offset1:228
	v_fma_f16 v53, v33, v93, -v53
	v_mul_f16_sdwa v93, v34, v94 dst_sel:DWORD dst_unused:UNUSED_PAD src0_sel:WORD_1 src1_sel:DWORD
	v_lshrrev_b32_e32 v96, 16, v54
	v_fma_f16 v93, v34, v52, v93
	v_mul_f16_sdwa v52, v34, v52 dst_sel:DWORD dst_unused:UNUSED_PAD src0_sel:WORD_1 src1_sel:DWORD
	v_fma_f16 v52, v34, v94, -v52
	v_mul_f16_sdwa v94, v33, v96 dst_sel:DWORD dst_unused:UNUSED_PAD src0_sel:WORD_1 src1_sel:DWORD
	s_waitcnt lgkmcnt(1)
	v_lshrrev_b32_e32 v97, 16, v57
	v_fma_f16 v94, v33, v54, v94
	v_mul_f16_sdwa v54, v33, v54 dst_sel:DWORD dst_unused:UNUSED_PAD src0_sel:WORD_1 src1_sel:DWORD
	v_fma_f16 v54, v33, v96, -v54
	v_mul_f16_sdwa v96, v34, v97 dst_sel:DWORD dst_unused:UNUSED_PAD src0_sel:WORD_1 src1_sel:DWORD
	s_waitcnt lgkmcnt(0)
	v_lshrrev_b32_e32 v99, 16, v59
	v_add_u32_e32 v100, 0xc00, v63
	v_fma_f16 v96, v34, v57, v96
	v_mul_f16_sdwa v57, v34, v57 dst_sel:DWORD dst_unused:UNUSED_PAD src0_sel:WORD_1 src1_sel:DWORD
	ds_read2_b32 v[85:86], v100 offset0:24 offset1:68
	v_fma_f16 v57, v34, v97, -v57
	v_mul_f16_sdwa v97, v33, v99 dst_sel:DWORD dst_unused:UNUSED_PAD src0_sel:WORD_1 src1_sel:DWORD
	v_lshrrev_b32_e32 v101, 16, v58
	v_fma_f16 v97, v33, v59, v97
	v_mul_f16_sdwa v59, v33, v59 dst_sel:DWORD dst_unused:UNUSED_PAD src0_sel:WORD_1 src1_sel:DWORD
	ds_read2_b32 v[87:88], v45 offset0:16 offset1:60
	v_fma_f16 v59, v33, v99, -v59
	v_mul_f16_sdwa v99, v34, v101 dst_sel:DWORD dst_unused:UNUSED_PAD src0_sel:WORD_1 src1_sel:DWORD
	v_lshrrev_b32_e32 v103, 16, v60
	v_fma_f16 v99, v34, v58, v99
	v_mul_f16_sdwa v58, v34, v58 dst_sel:DWORD dst_unused:UNUSED_PAD src0_sel:WORD_1 src1_sel:DWORD
	v_fma_f16 v58, v34, v101, -v58
	v_mul_f16_sdwa v101, v33, v103 dst_sel:DWORD dst_unused:UNUSED_PAD src0_sel:WORD_1 src1_sel:DWORD
	s_waitcnt lgkmcnt(1)
	v_lshrrev_b32_e32 v104, 16, v85
	v_fma_f16 v101, v33, v60, v101
	v_mul_f16_sdwa v60, v33, v60 dst_sel:DWORD dst_unused:UNUSED_PAD src0_sel:WORD_1 src1_sel:DWORD
	v_fma_f16 v60, v33, v103, -v60
	v_mul_f16_sdwa v103, v34, v104 dst_sel:DWORD dst_unused:UNUSED_PAD src0_sel:WORD_1 src1_sel:DWORD
	s_waitcnt lgkmcnt(0)
	v_lshrrev_b32_e32 v107, 16, v87
	v_fma_f16 v103, v34, v85, v103
	v_mul_f16_sdwa v85, v34, v85 dst_sel:DWORD dst_unused:UNUSED_PAD src0_sel:WORD_1 src1_sel:DWORD
	ds_read_b32 v106, v63 offset:3520
	v_fma_f16 v85, v34, v104, -v85
	v_mul_f16_sdwa v104, v33, v107 dst_sel:DWORD dst_unused:UNUSED_PAD src0_sel:WORD_1 src1_sel:DWORD
	v_lshrrev_b32_e32 v108, 16, v86
	v_fma_f16 v104, v33, v87, v104
	v_mul_f16_sdwa v87, v33, v87 dst_sel:DWORD dst_unused:UNUSED_PAD src0_sel:WORD_1 src1_sel:DWORD
	v_fma_f16 v87, v33, v107, -v87
	v_mul_f16_sdwa v107, v34, v108 dst_sel:DWORD dst_unused:UNUSED_PAD src0_sel:WORD_1 src1_sel:DWORD
	ds_read2_b32 v[47:48], v63 offset1:44
	v_lshrrev_b32_e32 v120, 16, v88
	v_fma_f16 v107, v34, v86, v107
	v_mul_f16_sdwa v86, v34, v86 dst_sel:DWORD dst_unused:UNUSED_PAD src0_sel:WORD_1 src1_sel:DWORD
	v_fma_f16 v86, v34, v108, -v86
	v_mul_f16_sdwa v108, v33, v120 dst_sel:DWORD dst_unused:UNUSED_PAD src0_sel:WORD_1 src1_sel:DWORD
	s_waitcnt lgkmcnt(1)
	v_lshrrev_b32_e32 v121, 16, v106
	v_fma_f16 v108, v33, v88, v108
	v_mul_f16_sdwa v88, v33, v88 dst_sel:DWORD dst_unused:UNUSED_PAD src0_sel:WORD_1 src1_sel:DWORD
	v_fma_f16 v33, v33, v120, -v88
	v_mul_f16_sdwa v88, v34, v121 dst_sel:DWORD dst_unused:UNUSED_PAD src0_sel:WORD_1 src1_sel:DWORD
	v_fma_f16 v88, v34, v106, v88
	v_mul_f16_sdwa v106, v34, v106 dst_sel:DWORD dst_unused:UNUSED_PAD src0_sel:WORD_1 src1_sel:DWORD
	v_add_f16_e32 v120, v122, v90
	s_waitcnt lgkmcnt(0)
	v_lshrrev_b32_e32 v89, 16, v47
	v_fma_f16 v34, v34, v121, -v106
	v_add_f16_e32 v106, v47, v122
	v_fma_f16 v47, v120, -0.5, v47
	v_sub_f16_e32 v120, v50, v51
	s_mov_b32 s2, 0xbaee
	s_movk_i32 s3, 0x3aee
	v_fma_f16 v121, v120, s2, v47
	v_fma_f16 v47, v120, s3, v47
	v_add_f16_e32 v120, v89, v50
	v_add_f16_e32 v50, v50, v51
	ds_read2_b32 v[55:56], v63 offset0:88 offset1:132
	v_add_f16_e32 v106, v106, v90
	v_add_f16_e32 v120, v120, v51
	v_fma_f16 v50, v50, -0.5, v89
	v_sub_f16_e32 v51, v122, v90
	v_add_f16_e32 v90, v91, v93
	v_lshrrev_b32_e32 v92, 16, v48
	v_fma_f16 v89, v51, s3, v50
	v_fma_f16 v50, v51, s2, v50
	v_add_f16_e32 v51, v48, v91
	v_fma_f16 v48, v90, -0.5, v48
	v_sub_f16_e32 v90, v53, v52
	v_fma_f16 v122, v90, s2, v48
	v_fma_f16 v48, v90, s3, v48
	v_add_f16_e32 v90, v92, v53
	v_add_f16_e32 v90, v90, v52
	;; [unrolled: 1-line block ×3, first 2 shown]
	v_fma_f16 v52, v52, -0.5, v92
	v_sub_f16_e32 v53, v91, v93
	v_add_f16_e32 v92, v94, v96
	s_waitcnt lgkmcnt(0)
	v_lshrrev_b32_e32 v95, 16, v55
	v_fma_f16 v91, v53, s3, v52
	v_fma_f16 v52, v53, s2, v52
	v_add_f16_e32 v53, v55, v94
	v_fma_f16 v55, v92, -0.5, v55
	v_sub_f16_e32 v92, v54, v57
	v_add_f16_e32 v51, v51, v93
	v_fma_f16 v93, v92, s2, v55
	v_fma_f16 v55, v92, s3, v55
	v_add_f16_e32 v92, v95, v54
	v_add_f16_e32 v54, v54, v57
	ds_read2_b32 v[61:62], v63 offset0:176 offset1:220
	v_add_f16_e32 v92, v92, v57
	v_fma_f16 v54, v54, -0.5, v95
	v_sub_f16_e32 v57, v94, v96
	v_add_f16_e32 v95, v97, v99
	v_lshrrev_b32_e32 v98, 16, v56
	v_fma_f16 v94, v57, s3, v54
	v_fma_f16 v54, v57, s2, v54
	v_add_f16_e32 v57, v56, v97
	v_fma_f16 v56, v95, -0.5, v56
	v_sub_f16_e32 v95, v59, v58
	v_add_f16_e32 v53, v53, v96
	v_fma_f16 v96, v95, s2, v56
	v_fma_f16 v56, v95, s3, v56
	v_add_f16_e32 v95, v98, v59
	v_add_f16_e32 v95, v95, v58
	;; [unrolled: 1-line block ×3, first 2 shown]
	v_fma_f16 v58, v58, -0.5, v98
	v_sub_f16_e32 v59, v97, v99
	v_add_f16_e32 v98, v101, v103
	s_waitcnt lgkmcnt(0)
	v_lshrrev_b32_e32 v102, 16, v61
	v_fma_f16 v97, v59, s3, v58
	v_fma_f16 v58, v59, s2, v58
	v_add_f16_e32 v59, v61, v101
	v_fma_f16 v61, v98, -0.5, v61
	v_sub_f16_e32 v98, v60, v85
	v_add_f16_e32 v57, v57, v99
	v_fma_f16 v99, v98, s2, v61
	v_fma_f16 v61, v98, s3, v61
	v_add_f16_e32 v98, v102, v60
	v_add_f16_e32 v60, v60, v85
	v_add_f16_e32 v98, v98, v85
	v_fma_f16 v60, v60, -0.5, v102
	v_sub_f16_e32 v85, v101, v103
	v_add_f16_e32 v102, v104, v107
	v_lshrrev_b32_e32 v105, 16, v62
	v_fma_f16 v101, v85, s3, v60
	v_fma_f16 v60, v85, s2, v60
	v_add_f16_e32 v85, v62, v104
	v_fma_f16 v62, v102, -0.5, v62
	v_sub_f16_e32 v102, v87, v86
	v_add_f16_e32 v59, v59, v103
	v_fma_f16 v103, v102, s2, v62
	v_fma_f16 v62, v102, s3, v62
	v_add_f16_e32 v102, v105, v87
	v_add_f16_e32 v102, v102, v86
	v_add_f16_e32 v86, v87, v86
	v_fma_f16 v86, v86, -0.5, v105
	v_sub_f16_e32 v87, v104, v107
	v_add_f16_e32 v105, v108, v88
	;; [unrolled: 15-line block ×3, first 2 shown]
	v_fma_f16 v88, v34, s3, v33
	v_fma_f16 v33, v34, s2, v33
	v_pack_b32_f16 v34, v106, v120
	v_pack_b32_f16 v89, v121, v89
	s_waitcnt lgkmcnt(0)
	; wave barrier
	ds_write2_b32 v109, v34, v89 offset1:4
	v_pack_b32_f16 v34, v47, v50
	ds_write_b32 v109, v34 offset:32
	v_pack_b32_f16 v34, v51, v90
	v_pack_b32_f16 v47, v122, v91
	ds_write2_b32 v110, v34, v47 offset1:4
	v_pack_b32_f16 v34, v48, v52
	ds_write_b32 v110, v34 offset:32
	v_pack_b32_f16 v34, v53, v92
	v_pack_b32_f16 v47, v93, v94
	;; [unrolled: 5-line block ×6, first 2 shown]
	v_pack_b32_f16 v33, v49, v33
	ds_write2_b32 v115, v34, v47 offset1:4
	ds_write_b32 v115, v33 offset:32
	s_waitcnt lgkmcnt(0)
	; wave barrier
	s_waitcnt lgkmcnt(0)
	ds_read2_b32 v[33:34], v63 offset0:88 offset1:132
	ds_read2_b32 v[47:48], v46 offset0:8 offset1:52
	ds_read2_b32 v[49:50], v63 offset1:44
	ds_read2_b32 v[51:52], v46 offset0:96 offset1:140
	ds_read2_b32 v[53:54], v45 offset0:16 offset1:60
	s_waitcnt lgkmcnt(4)
	v_lshrrev_b32_e32 v87, 16, v34
	v_mul_f16_sdwa v106, v8, v87 dst_sel:DWORD dst_unused:UNUSED_PAD src0_sel:WORD_1 src1_sel:DWORD
	s_waitcnt lgkmcnt(3)
	v_lshrrev_b32_e32 v88, 16, v47
	v_fma_f16 v106, v8, v34, v106
	v_mul_f16_sdwa v34, v8, v34 dst_sel:DWORD dst_unused:UNUSED_PAD src0_sel:WORD_1 src1_sel:DWORD
	ds_read2_b32 v[55:56], v45 offset0:104 offset1:148
	v_fma_f16 v8, v8, v87, -v34
	v_mul_f16_sdwa v34, v9, v88 dst_sel:DWORD dst_unused:UNUSED_PAD src0_sel:WORD_1 src1_sel:DWORD
	s_waitcnt lgkmcnt(2)
	v_lshrrev_b32_e32 v89, 16, v52
	v_fma_f16 v34, v9, v47, v34
	v_mul_f16_sdwa v47, v9, v47 dst_sel:DWORD dst_unused:UNUSED_PAD src0_sel:WORD_1 src1_sel:DWORD
	ds_read2_b32 v[57:58], v100 offset0:24 offset1:68
	v_fma_f16 v9, v9, v88, -v47
	;; [unrolled: 7-line block ×3, first 2 shown]
	v_mul_f16_sdwa v52, v11, v90 dst_sel:DWORD dst_unused:UNUSED_PAD src0_sel:WORD_1 src1_sel:DWORD
	s_waitcnt lgkmcnt(2)
	v_lshrrev_b32_e32 v91, 16, v56
	v_fma_f16 v52, v11, v53, v52
	v_mul_f16_sdwa v53, v11, v53 dst_sel:DWORD dst_unused:UNUSED_PAD src0_sel:WORD_1 src1_sel:DWORD
	v_fma_f16 v11, v11, v90, -v53
	v_mul_f16_sdwa v53, v35, v91 dst_sel:DWORD dst_unused:UNUSED_PAD src0_sel:WORD_1 src1_sel:DWORD
	s_waitcnt lgkmcnt(1)
	v_lshrrev_b32_e32 v92, 16, v57
	v_fma_f16 v53, v35, v56, v53
	v_mul_f16_sdwa v56, v35, v56 dst_sel:DWORD dst_unused:UNUSED_PAD src0_sel:WORD_1 src1_sel:DWORD
	ds_read2_b32 v[61:62], v46 offset0:184 offset1:228
	v_fma_f16 v35, v35, v91, -v56
	v_mul_f16_sdwa v56, v36, v92 dst_sel:DWORD dst_unused:UNUSED_PAD src0_sel:WORD_1 src1_sel:DWORD
	s_waitcnt lgkmcnt(1)
	v_lshrrev_b32_e32 v93, 16, v59
	v_fma_f16 v56, v36, v57, v56
	v_mul_f16_sdwa v57, v36, v57 dst_sel:DWORD dst_unused:UNUSED_PAD src0_sel:WORD_1 src1_sel:DWORD
	v_fma_f16 v36, v36, v92, -v57
	v_mul_f16_sdwa v57, v12, v93 dst_sel:DWORD dst_unused:UNUSED_PAD src0_sel:WORD_1 src1_sel:DWORD
	v_lshrrev_b32_e32 v94, 16, v48
	v_fma_f16 v57, v12, v59, v57
	v_mul_f16_sdwa v59, v12, v59 dst_sel:DWORD dst_unused:UNUSED_PAD src0_sel:WORD_1 src1_sel:DWORD
	ds_read2_b32 v[85:86], v45 offset0:192 offset1:236
	v_fma_f16 v12, v12, v93, -v59
	v_mul_f16_sdwa v59, v13, v94 dst_sel:DWORD dst_unused:UNUSED_PAD src0_sel:WORD_1 src1_sel:DWORD
	s_waitcnt lgkmcnt(1)
	v_lshrrev_b32_e32 v95, 16, v61
	v_fma_f16 v59, v13, v48, v59
	v_mul_f16_sdwa v48, v13, v48 dst_sel:DWORD dst_unused:UNUSED_PAD src0_sel:WORD_1 src1_sel:DWORD
	v_fma_f16 v13, v13, v94, -v48
	v_mul_f16_sdwa v48, v14, v95 dst_sel:DWORD dst_unused:UNUSED_PAD src0_sel:WORD_1 src1_sel:DWORD
	v_lshrrev_b32_e32 v96, 16, v54
	v_fma_f16 v48, v14, v61, v48
	v_mul_f16_sdwa v61, v14, v61 dst_sel:DWORD dst_unused:UNUSED_PAD src0_sel:WORD_1 src1_sel:DWORD
	v_fma_f16 v14, v14, v95, -v61
	v_mul_f16_sdwa v61, v15, v96 dst_sel:DWORD dst_unused:UNUSED_PAD src0_sel:WORD_1 src1_sel:DWORD
	s_waitcnt lgkmcnt(0)
	v_lshrrev_b32_e32 v97, 16, v85
	v_fma_f16 v61, v15, v54, v61
	v_mul_f16_sdwa v54, v15, v54 dst_sel:DWORD dst_unused:UNUSED_PAD src0_sel:WORD_1 src1_sel:DWORD
	v_fma_f16 v15, v15, v96, -v54
	v_mul_f16_sdwa v54, v37, v97 dst_sel:DWORD dst_unused:UNUSED_PAD src0_sel:WORD_1 src1_sel:DWORD
	v_lshrrev_b32_e32 v98, 16, v58
	v_fma_f16 v54, v37, v85, v54
	v_mul_f16_sdwa v85, v37, v85 dst_sel:DWORD dst_unused:UNUSED_PAD src0_sel:WORD_1 src1_sel:DWORD
	v_fma_f16 v37, v37, v97, -v85
	v_mul_f16_sdwa v85, v38, v98 dst_sel:DWORD dst_unused:UNUSED_PAD src0_sel:WORD_1 src1_sel:DWORD
	;; [unrolled: 5-line block ×4, first 2 shown]
	v_lshrrev_b32_e32 v102, 16, v62
	v_fma_f16 v60, v17, v51, v60
	v_mul_f16_sdwa v51, v17, v51 dst_sel:DWORD dst_unused:UNUSED_PAD src0_sel:WORD_1 src1_sel:DWORD
	ds_read_b32 v100, v63 offset:3520
	v_fma_f16 v17, v17, v101, -v51
	v_mul_f16_sdwa v51, v18, v102 dst_sel:DWORD dst_unused:UNUSED_PAD src0_sel:WORD_1 src1_sel:DWORD
	v_lshrrev_b32_e32 v103, 16, v55
	v_fma_f16 v51, v18, v62, v51
	v_mul_f16_sdwa v62, v18, v62 dst_sel:DWORD dst_unused:UNUSED_PAD src0_sel:WORD_1 src1_sel:DWORD
	v_fma_f16 v18, v18, v102, -v62
	v_mul_f16_sdwa v62, v19, v103 dst_sel:DWORD dst_unused:UNUSED_PAD src0_sel:WORD_1 src1_sel:DWORD
	v_lshrrev_b32_e32 v104, 16, v86
	v_fma_f16 v62, v19, v55, v62
	v_mul_f16_sdwa v55, v19, v55 dst_sel:DWORD dst_unused:UNUSED_PAD src0_sel:WORD_1 src1_sel:DWORD
	v_fma_f16 v19, v19, v103, -v55
	v_mul_f16_sdwa v55, v39, v104 dst_sel:DWORD dst_unused:UNUSED_PAD src0_sel:WORD_1 src1_sel:DWORD
	s_waitcnt lgkmcnt(0)
	v_lshrrev_b32_e32 v105, 16, v100
	v_fma_f16 v55, v39, v86, v55
	v_mul_f16_sdwa v86, v39, v86 dst_sel:DWORD dst_unused:UNUSED_PAD src0_sel:WORD_1 src1_sel:DWORD
	v_fma_f16 v39, v39, v104, -v86
	v_mul_f16_sdwa v86, v40, v105 dst_sel:DWORD dst_unused:UNUSED_PAD src0_sel:WORD_1 src1_sel:DWORD
	v_mul_f16_sdwa v87, v40, v100 dst_sel:DWORD dst_unused:UNUSED_PAD src0_sel:WORD_1 src1_sel:DWORD
	v_fma_f16 v86, v40, v100, v86
	v_fma_f16 v40, v40, v105, -v87
	v_add_f16_e32 v87, v106, v56
	v_add_f16_e32 v88, v8, v36
	v_sub_f16_e32 v8, v8, v36
	v_add_f16_e32 v36, v34, v53
	v_add_f16_e32 v89, v9, v35
	v_sub_f16_e32 v34, v34, v53
	v_sub_f16_e32 v9, v9, v35
	v_add_f16_e32 v35, v47, v52
	v_add_f16_e32 v53, v10, v11
	v_sub_f16_e32 v47, v52, v47
	;; [unrolled: 4-line block ×3, first 2 shown]
	v_sub_f16_e32 v90, v36, v87
	v_sub_f16_e32 v91, v89, v88
	;; [unrolled: 1-line block ×6, first 2 shown]
	v_add_f16_e32 v92, v47, v34
	v_add_f16_e32 v93, v10, v9
	v_sub_f16_e32 v94, v47, v34
	v_sub_f16_e32 v95, v10, v9
	;; [unrolled: 1-line block ×3, first 2 shown]
	v_add_f16_e32 v11, v35, v11
	v_add_f16_e32 v35, v53, v52
	v_sub_f16_e32 v47, v56, v47
	v_sub_f16_e32 v10, v8, v10
	;; [unrolled: 1-line block ×3, first 2 shown]
	v_add_f16_e32 v52, v92, v56
	v_add_f16_e32 v8, v93, v8
	;; [unrolled: 1-line block ×3, first 2 shown]
	v_add_f16_sdwa v93, v49, v35 dst_sel:DWORD dst_unused:UNUSED_PAD src0_sel:WORD_1 src1_sel:DWORD
	v_mul_f16_e32 v49, 0x3a52, v87
	v_mul_f16_e32 v53, 0x3a52, v88
	s_movk_i32 s2, 0x2b26
	v_mul_f16_e32 v56, 0x2b26, v36
	v_mul_f16_e32 v87, 0x2b26, v89
	;; [unrolled: 1-line block ×4, first 2 shown]
	s_mov_b32 s3, 0xbb00
	v_mul_f16_e32 v96, 0xbb00, v9
	s_mov_b32 s4, 0xbcab
	s_movk_i32 s5, 0x39e0
	s_mov_b32 s12, 0xb9e0
	s_mov_b32 s13, 0xb574
	s_movk_i32 s14, 0x3574
	v_mul_f16_e32 v95, 0xbb00, v34
	v_fma_f16 v11, v11, s4, v92
	v_fma_f16 v35, v35, s4, v93
	;; [unrolled: 1-line block ×4, first 2 shown]
	v_fma_f16 v56, v90, s5, -v56
	v_fma_f16 v87, v91, s5, -v87
	;; [unrolled: 1-line block ×4, first 2 shown]
	v_fma_f16 v91, v10, s13, v94
	v_fma_f16 v34, v34, s3, -v88
	v_fma_f16 v9, v9, s3, -v94
	;; [unrolled: 1-line block ×3, first 2 shown]
	s_mov_b32 s15, 0xb70e
	v_fma_f16 v90, v47, s13, v88
	v_fma_f16 v47, v47, s14, -v95
	v_add_f16_e32 v36, v36, v11
	v_add_f16_e32 v88, v89, v35
	v_add_f16_e32 v56, v56, v11
	v_add_f16_e32 v87, v87, v35
	v_add_f16_e32 v11, v49, v11
	v_add_f16_e32 v35, v53, v35
	v_fma_f16 v53, v8, s15, v91
	v_fma_f16 v34, v52, s15, v34
	;; [unrolled: 1-line block ×6, first 2 shown]
	v_add_f16_e32 v91, v8, v11
	v_sub_f16_e32 v95, v56, v9
	v_add_f16_e32 v96, v34, v87
	v_add_f16_e32 v97, v9, v56
	v_sub_f16_e32 v34, v87, v34
	v_sub_f16_e32 v87, v11, v8
	v_add_f16_e32 v8, v57, v85
	v_add_f16_e32 v9, v12, v38
	v_sub_f16_e32 v11, v12, v38
	v_add_f16_e32 v12, v59, v54
	v_add_f16_e32 v38, v13, v37
	v_sub_f16_e32 v90, v88, v49
	v_sub_f16_e32 v94, v35, v47
	v_add_f16_e32 v35, v47, v35
	v_add_f16_e32 v88, v49, v88
	v_sub_f16_e32 v10, v57, v85
	v_sub_f16_e32 v47, v59, v54
	;; [unrolled: 1-line block ×3, first 2 shown]
	v_add_f16_e32 v37, v48, v61
	v_add_f16_e32 v49, v14, v15
	v_sub_f16_e32 v48, v61, v48
	v_sub_f16_e32 v14, v15, v14
	v_add_f16_e32 v15, v12, v8
	v_add_f16_e32 v52, v38, v9
	;; [unrolled: 1-line block ×3, first 2 shown]
	v_sub_f16_e32 v36, v36, v53
	v_sub_f16_e32 v53, v12, v8
	;; [unrolled: 1-line block ×7, first 2 shown]
	v_add_f16_e32 v56, v48, v47
	v_add_f16_e32 v57, v14, v13
	v_sub_f16_e32 v59, v48, v47
	v_sub_f16_e32 v61, v14, v13
	;; [unrolled: 1-line block ×4, first 2 shown]
	v_add_f16_e32 v15, v37, v15
	v_add_f16_e32 v37, v49, v52
	v_sub_f16_e32 v48, v10, v48
	v_sub_f16_e32 v14, v11, v14
	v_add_f16_e32 v10, v56, v10
	v_add_f16_e32 v11, v57, v11
	;; [unrolled: 1-line block ×3, first 2 shown]
	v_add_f16_sdwa v85, v50, v37 dst_sel:DWORD dst_unused:UNUSED_PAD src0_sel:WORD_1 src1_sel:DWORD
	v_mul_f16_e32 v8, 0x3a52, v8
	v_mul_f16_e32 v9, 0x3a52, v9
	;; [unrolled: 1-line block ×8, first 2 shown]
	v_fma_f16 v15, v15, s4, v57
	v_fma_f16 v37, v37, s4, v85
	;; [unrolled: 1-line block ×4, first 2 shown]
	v_fma_f16 v49, v53, s5, -v49
	v_fma_f16 v50, v54, s5, -v50
	;; [unrolled: 1-line block ×4, first 2 shown]
	v_fma_f16 v53, v48, s13, v52
	v_fma_f16 v54, v14, s13, v56
	v_fma_f16 v47, v47, s3, -v52
	v_fma_f16 v13, v13, s3, -v56
	;; [unrolled: 1-line block ×4, first 2 shown]
	v_add_f16_e32 v12, v12, v15
	v_add_f16_e32 v38, v38, v37
	;; [unrolled: 1-line block ×6, first 2 shown]
	v_fma_f16 v52, v10, s15, v53
	v_fma_f16 v53, v11, s15, v54
	v_fma_f16 v9, v10, s15, v47
	v_fma_f16 v8, v11, s15, v13
	v_fma_f16 v10, v10, s15, v48
	v_fma_f16 v11, v11, s15, v14
	v_add_f16_e32 v59, v53, v12
	v_add_f16_e32 v98, v11, v15
	v_sub_f16_e32 v99, v37, v10
	v_sub_f16_e32 v100, v49, v8
	v_add_f16_e32 v101, v9, v50
	v_add_f16_e32 v8, v8, v49
	v_sub_f16_e32 v47, v50, v9
	v_sub_f16_e32 v9, v15, v11
	v_add_f16_e32 v49, v10, v37
	v_sub_f16_e32 v10, v12, v53
	v_add_f16_e32 v11, v58, v86
	v_add_f16_e32 v12, v16, v40
	v_sub_f16_e32 v14, v16, v40
	v_add_f16_e32 v15, v60, v55
	v_add_f16_e32 v16, v17, v39
	v_sub_f16_e32 v61, v38, v52
	v_add_f16_e32 v48, v52, v38
	v_sub_f16_e32 v37, v60, v55
	v_sub_f16_e32 v17, v17, v39
	v_add_f16_e32 v38, v51, v62
	v_add_f16_e32 v39, v18, v19
	v_sub_f16_e32 v40, v62, v51
	v_sub_f16_e32 v18, v19, v18
	v_add_f16_e32 v19, v15, v11
	v_add_f16_e32 v50, v16, v12
	v_sub_f16_e32 v13, v58, v86
	v_sub_f16_e32 v51, v15, v11
	;; [unrolled: 1-line block ×7, first 2 shown]
	v_add_f16_e32 v11, v40, v37
	v_add_f16_e32 v54, v18, v17
	v_sub_f16_e32 v55, v40, v37
	v_sub_f16_e32 v56, v18, v17
	;; [unrolled: 1-line block ×3, first 2 shown]
	v_add_f16_e32 v19, v38, v19
	v_add_f16_e32 v38, v39, v50
	v_sub_f16_e32 v40, v13, v40
	v_sub_f16_e32 v18, v14, v18
	;; [unrolled: 1-line block ×3, first 2 shown]
	v_add_f16_e32 v13, v11, v13
	v_add_f16_e32 v14, v54, v14
	;; [unrolled: 1-line block ×3, first 2 shown]
	v_add_f16_sdwa v50, v33, v38 dst_sel:DWORD dst_unused:UNUSED_PAD src0_sel:WORD_1 src1_sel:DWORD
	v_mul_f16_e32 v33, 0x3a52, v53
	v_mul_f16_e32 v12, 0x3a52, v12
	;; [unrolled: 1-line block ×8, first 2 shown]
	v_fma_f16 v19, v19, s4, v11
	v_fma_f16 v38, v38, s4, v50
	;; [unrolled: 1-line block ×4, first 2 shown]
	v_fma_f16 v39, v51, s5, -v39
	v_fma_f16 v53, v52, s5, -v53
	;; [unrolled: 1-line block ×4, first 2 shown]
	v_fma_f16 v52, v18, s13, v55
	v_fma_f16 v37, v37, s3, -v54
	v_fma_f16 v18, v18, s14, -v58
	v_fma_f16 v51, v40, s13, v54
	v_fma_f16 v40, v40, s14, -v56
	v_add_f16_e32 v56, v15, v19
	v_add_f16_e32 v58, v16, v38
	;; [unrolled: 1-line block ×5, first 2 shown]
	v_fma_f16 v37, v13, s15, v37
	v_fma_f16 v18, v14, s15, v18
	v_add_f16_e32 v33, v12, v38
	v_fma_f16 v38, v13, s15, v51
	v_fma_f16 v40, v13, s15, v40
	v_add_f16_e32 v13, v18, v19
	v_add_f16_e32 v53, v37, v16
	v_sub_f16_e32 v54, v16, v37
	v_sub_f16_e32 v16, v19, v18
	v_pack_b32_f16 v18, v92, v93
	v_pack_b32_f16 v19, v89, v90
	s_waitcnt lgkmcnt(0)
	; wave barrier
	ds_write2_b32 v116, v18, v19 offset1:12
	v_pack_b32_f16 v18, v91, v94
	v_pack_b32_f16 v19, v95, v96
	ds_write2_b32 v116, v18, v19 offset0:24 offset1:36
	v_pack_b32_f16 v18, v97, v34
	v_pack_b32_f16 v19, v87, v35
	ds_write2_b32 v116, v18, v19 offset0:48 offset1:60
	v_pack_b32_f16 v18, v36, v88
	ds_write_b32 v116, v18 offset:288
	v_pack_b32_f16 v18, v57, v85
	v_pack_b32_f16 v19, v59, v61
	ds_write2_b32 v117, v18, v19 offset1:12
	v_pack_b32_f16 v18, v98, v99
	v_pack_b32_f16 v19, v100, v101
	v_fma_f16 v17, v17, s3, -v55
	v_fma_f16 v39, v14, s15, v52
	ds_write2_b32 v117, v18, v19 offset0:24 offset1:36
	v_pack_b32_f16 v18, v8, v47
	v_pack_b32_f16 v19, v9, v49
	v_fma_f16 v17, v14, s15, v17
	v_add_f16_e32 v12, v39, v56
	v_sub_f16_e32 v51, v58, v38
	ds_write2_b32 v117, v18, v19 offset0:48 offset1:60
	v_pack_b32_f16 v18, v10, v48
	v_sub_f16_e32 v52, v33, v40
	v_sub_f16_e32 v14, v15, v17
	ds_write_b32 v117, v18 offset:288
	v_pack_b32_f16 v18, v11, v50
	v_pack_b32_f16 v19, v12, v51
	v_add_f16_e32 v15, v17, v15
	v_add_f16_e32 v55, v40, v33
	ds_write2_b32 v118, v18, v19 offset1:12
	v_pack_b32_f16 v18, v13, v52
	v_pack_b32_f16 v19, v14, v53
	v_sub_f16_e32 v17, v56, v39
	v_add_f16_e32 v56, v38, v58
	ds_write2_b32 v118, v18, v19 offset0:24 offset1:36
	v_pack_b32_f16 v18, v15, v54
	v_pack_b32_f16 v19, v16, v55
	ds_write2_b32 v118, v18, v19 offset0:48 offset1:60
	v_pack_b32_f16 v18, v17, v56
	v_add_u32_e32 v57, 0x600, v63
	ds_write_b32 v118, v18 offset:288
	s_waitcnt lgkmcnt(0)
	; wave barrier
	s_waitcnt lgkmcnt(0)
	ds_read2_b32 v[18:19], v63 offset1:84
	ds_read2_b32 v[39:40], v63 offset0:168 offset1:252
	ds_read2_b32 v[37:38], v46 offset0:80 offset1:164
	;; [unrolled: 1-line block ×4, first 2 shown]
	ds_read_b32 v58, v63 offset:3360
	s_and_saveexec_b64 s[2:3], vcc
	s_cbranch_execz .LBB0_27
; %bb.26:
	v_add_u32_e32 v10, 0x200, v63
	v_add_u32_e32 v16, 0xa00, v63
	ds_read2_b32 v[8:9], v63 offset0:44 offset1:128
	ds_read2_b32 v[10:11], v10 offset0:84 offset1:168
	;; [unrolled: 1-line block ×5, first 2 shown]
	ds_read_b32 v43, v63 offset:3536
	s_waitcnt lgkmcnt(5)
	v_lshrrev_b32_e32 v47, 16, v8
	v_lshrrev_b32_e32 v49, 16, v9
	s_waitcnt lgkmcnt(4)
	v_lshrrev_b32_e32 v48, 16, v10
	v_lshrrev_b32_e32 v50, 16, v11
	s_waitcnt lgkmcnt(3)
	v_lshrrev_b32_e32 v51, 16, v12
	v_lshrrev_b32_e32 v52, 16, v13
	s_waitcnt lgkmcnt(2)
	v_lshrrev_b32_e32 v53, 16, v14
	v_lshrrev_b32_e32 v54, 16, v15
	s_waitcnt lgkmcnt(1)
	v_lshrrev_b32_e32 v55, 16, v16
	v_lshrrev_b32_e32 v56, 16, v17
	s_waitcnt lgkmcnt(0)
	v_lshrrev_b32_e32 v44, 16, v43
.LBB0_27:
	s_or_b64 exec, exec, s[2:3]
	s_waitcnt lgkmcnt(5)
	v_lshrrev_b32_e32 v59, 16, v19
	v_mul_f16_sdwa v91, v20, v59 dst_sel:DWORD dst_unused:UNUSED_PAD src0_sel:WORD_1 src1_sel:DWORD
	s_waitcnt lgkmcnt(4)
	v_lshrrev_b32_e32 v60, 16, v39
	v_fma_f16 v91, v20, v19, v91
	v_mul_f16_sdwa v19, v20, v19 dst_sel:DWORD dst_unused:UNUSED_PAD src0_sel:WORD_1 src1_sel:DWORD
	v_fma_f16 v19, v20, v59, -v19
	v_mul_f16_sdwa v20, v21, v60 dst_sel:DWORD dst_unused:UNUSED_PAD src0_sel:WORD_1 src1_sel:DWORD
	v_lshrrev_b32_e32 v61, 16, v40
	v_fma_f16 v20, v21, v39, v20
	v_mul_f16_sdwa v39, v21, v39 dst_sel:DWORD dst_unused:UNUSED_PAD src0_sel:WORD_1 src1_sel:DWORD
	v_fma_f16 v21, v21, v60, -v39
	v_mul_f16_sdwa v39, v22, v61 dst_sel:DWORD dst_unused:UNUSED_PAD src0_sel:WORD_1 src1_sel:DWORD
	s_waitcnt lgkmcnt(3)
	v_lshrrev_b32_e32 v62, 16, v37
	v_fma_f16 v39, v22, v40, v39
	v_mul_f16_sdwa v40, v22, v40 dst_sel:DWORD dst_unused:UNUSED_PAD src0_sel:WORD_1 src1_sel:DWORD
	v_fma_f16 v22, v22, v61, -v40
	v_mul_f16_sdwa v40, v23, v62 dst_sel:DWORD dst_unused:UNUSED_PAD src0_sel:WORD_1 src1_sel:DWORD
	v_lshrrev_b32_e32 v85, 16, v38
	v_fma_f16 v40, v23, v37, v40
	v_mul_f16_sdwa v37, v23, v37 dst_sel:DWORD dst_unused:UNUSED_PAD src0_sel:WORD_1 src1_sel:DWORD
	v_fma_f16 v23, v23, v62, -v37
	;; [unrolled: 11-line block ×4, first 2 shown]
	v_mul_f16_sdwa v33, v41, v89 dst_sel:DWORD dst_unused:UNUSED_PAD src0_sel:WORD_1 src1_sel:DWORD
	s_waitcnt lgkmcnt(0)
	v_lshrrev_b32_e32 v90, 16, v58
	v_fma_f16 v33, v41, v34, v33
	v_mul_f16_sdwa v34, v41, v34 dst_sel:DWORD dst_unused:UNUSED_PAD src0_sel:WORD_1 src1_sel:DWORD
	v_fma_f16 v34, v41, v89, -v34
	v_mul_f16_sdwa v41, v42, v90 dst_sel:DWORD dst_unused:UNUSED_PAD src0_sel:WORD_1 src1_sel:DWORD
	v_fma_f16 v41, v42, v58, v41
	v_mul_f16_sdwa v58, v42, v58 dst_sel:DWORD dst_unused:UNUSED_PAD src0_sel:WORD_1 src1_sel:DWORD
	v_fma_f16 v42, v42, v90, -v58
	v_add_f16_e32 v58, v18, v91
	v_add_f16_sdwa v59, v18, v19 dst_sel:DWORD dst_unused:UNUSED_PAD src0_sel:WORD_1 src1_sel:DWORD
	v_add_f16_e32 v58, v58, v20
	v_add_f16_e32 v59, v59, v21
	;; [unrolled: 1-line block ×17, first 2 shown]
	v_sub_f16_e32 v19, v19, v42
	v_add_f16_e32 v58, v58, v41
	v_add_f16_e32 v59, v59, v42
	;; [unrolled: 1-line block ×3, first 2 shown]
	v_sub_f16_e32 v41, v91, v41
	s_mov_b32 s16, 0xb853
	v_mul_f16_e32 v42, 0xb853, v19
	s_movk_i32 s4, 0x3abb
	v_mul_f16_e32 v85, 0x3abb, v61
	s_movk_i32 s17, 0x3853
	s_mov_b32 s3, 0xbb47
	v_mul_f16_e32 v87, 0xbb47, v19
	s_movk_i32 s5, 0x36a6
	v_mul_f16_e32 v89, 0x36a6, v61
	s_movk_i32 s15, 0x3b47
	s_mov_b32 s2, 0xbbeb
	v_mul_f16_e32 v91, 0xbbeb, v19
	s_mov_b32 s12, 0xb08e
	v_mul_f16_e32 v93, 0xb08e, v61
	s_movk_i32 s18, 0x3beb
	s_mov_b32 s19, 0xba0c
	v_mul_f16_e32 v95, 0xba0c, v19
	s_mov_b32 s13, 0xb93d
	;; [unrolled: 5-line block ×3, first 2 shown]
	v_mul_f16_e32 v61, 0xbbad, v61
	v_fma_f16 v62, v60, s4, v42
	v_fma_f16 v86, v41, s17, v85
	v_fma_f16 v42, v60, s4, -v42
	v_fma_f16 v85, v41, s16, v85
	v_fma_f16 v88, v60, s5, v87
	v_fma_f16 v90, v41, s15, v89
	v_fma_f16 v87, v60, s5, -v87
	v_fma_f16 v89, v41, s3, v89
	;; [unrolled: 4-line block ×5, first 2 shown]
	v_add_f16_e32 v60, v21, v34
	v_sub_f16_e32 v21, v21, v34
	v_add_f16_e32 v62, v18, v62
	v_add_f16_sdwa v86, v18, v86 dst_sel:DWORD dst_unused:UNUSED_PAD src0_sel:WORD_1 src1_sel:DWORD
	v_add_f16_e32 v42, v18, v42
	v_add_f16_sdwa v85, v18, v85 dst_sel:DWORD dst_unused:UNUSED_PAD src0_sel:WORD_1 src1_sel:DWORD
	;; [unrolled: 2-line block ×10, first 2 shown]
	v_add_f16_e32 v41, v20, v33
	v_sub_f16_e32 v20, v20, v33
	v_mul_f16_e32 v33, 0xbb47, v21
	v_fma_f16 v34, v41, s5, v33
	v_mul_f16_e32 v61, 0x36a6, v60
	v_fma_f16 v33, v41, s5, -v33
	v_add_f16_e32 v34, v34, v62
	v_fma_f16 v62, v20, s15, v61
	v_add_f16_e32 v33, v33, v42
	v_fma_f16 v42, v20, s3, v61
	v_mul_f16_e32 v61, 0xba0c, v21
	v_add_f16_e32 v62, v62, v86
	v_add_f16_e32 v42, v42, v85
	v_fma_f16 v85, v41, s13, v61
	v_mul_f16_e32 v86, 0xb93d, v60
	v_fma_f16 v61, v41, s13, -v61
	v_add_f16_e32 v85, v85, v88
	v_fma_f16 v88, v20, s20, v86
	v_add_f16_e32 v61, v61, v87
	v_fma_f16 v86, v20, s19, v86
	v_mul_f16_e32 v87, 0x3482, v21
	v_add_f16_e32 v88, v88, v90
	v_add_f16_e32 v86, v86, v89
	;; [unrolled: 10-line block ×3, first 2 shown]
	v_fma_f16 v93, v41, s12, v91
	v_mul_f16_e32 v94, 0xb08e, v60
	v_fma_f16 v91, v41, s12, -v91
	v_mul_f16_e32 v21, 0x3853, v21
	v_add_f16_e32 v93, v93, v96
	v_fma_f16 v96, v20, s2, v94
	v_add_f16_e32 v91, v91, v95
	v_fma_f16 v94, v20, s18, v94
	v_fma_f16 v95, v41, s4, v21
	v_mul_f16_e32 v60, 0x3abb, v60
	v_fma_f16 v21, v41, s4, -v21
	v_add_f16_e32 v94, v94, v97
	v_fma_f16 v97, v20, s16, v60
	v_add_f16_e32 v19, v21, v19
	v_fma_f16 v20, v20, s17, v60
	v_add_f16_e32 v21, v22, v27
	v_sub_f16_e32 v22, v22, v27
	v_add_f16_e32 v18, v20, v18
	v_add_f16_e32 v20, v39, v36
	v_mul_f16_e32 v27, 0xbbeb, v22
	v_sub_f16_e32 v36, v39, v36
	v_fma_f16 v39, v20, s12, v27
	v_add_f16_e32 v34, v39, v34
	v_mul_f16_e32 v39, 0xb08e, v21
	v_fma_f16 v27, v20, s12, -v27
	v_fma_f16 v41, v36, s18, v39
	v_add_f16_e32 v27, v27, v33
	v_fma_f16 v33, v36, s2, v39
	v_mul_f16_e32 v39, 0x3482, v22
	v_add_f16_e32 v33, v33, v42
	v_fma_f16 v42, v20, s14, v39
	v_fma_f16 v39, v20, s14, -v39
	v_mul_f16_e32 v60, 0xbbad, v21
	v_add_f16_e32 v39, v39, v61
	v_mul_f16_e32 v61, 0x3b47, v22
	v_add_f16_e32 v41, v41, v62
	v_add_f16_e32 v42, v42, v85
	v_fma_f16 v62, v36, s21, v60
	v_fma_f16 v60, v36, s22, v60
	;; [unrolled: 1-line block ×3, first 2 shown]
	v_fma_f16 v61, v20, s5, -v61
	v_add_f16_e32 v60, v60, v86
	v_mul_f16_e32 v86, 0x36a6, v21
	v_add_f16_e32 v61, v61, v87
	v_mul_f16_e32 v87, 0xb853, v22
	v_add_f16_e32 v62, v62, v88
	v_add_f16_e32 v85, v85, v89
	v_fma_f16 v88, v36, s3, v86
	v_fma_f16 v86, v36, s15, v86
	;; [unrolled: 1-line block ×3, first 2 shown]
	v_fma_f16 v87, v20, s4, -v87
	v_mul_f16_e32 v22, 0xba0c, v22
	v_add_f16_e32 v86, v86, v90
	v_mul_f16_e32 v90, 0x3abb, v21
	v_add_f16_e32 v87, v87, v91
	v_fma_f16 v91, v20, s13, v22
	v_mul_f16_e32 v21, 0xb93d, v21
	v_fma_f16 v20, v20, s13, -v22
	v_add_f16_e32 v89, v89, v93
	v_fma_f16 v93, v36, s20, v21
	v_add_f16_e32 v19, v20, v19
	v_fma_f16 v20, v36, s19, v21
	v_add_f16_e32 v21, v23, v26
	v_sub_f16_e32 v23, v23, v26
	v_add_f16_e32 v18, v20, v18
	v_add_f16_e32 v20, v40, v35
	v_mul_f16_e32 v26, 0xba0c, v23
	v_sub_f16_e32 v22, v40, v35
	v_fma_f16 v35, v20, s13, v26
	v_add_f16_e32 v34, v35, v34
	v_mul_f16_e32 v35, 0xb93d, v21
	v_fma_f16 v26, v20, s13, -v26
	v_add_f16_e32 v26, v26, v27
	v_fma_f16 v27, v22, s19, v35
	v_add_f16_e32 v27, v27, v33
	v_mul_f16_e32 v33, 0x3beb, v23
	v_add_f16_e32 v88, v88, v92
	v_fma_f16 v92, v36, s17, v90
	v_fma_f16 v90, v36, s16, v90
	v_fma_f16 v36, v22, s20, v35
	v_fma_f16 v35, v20, s12, v33
	v_mul_f16_e32 v40, 0xb08e, v21
	v_fma_f16 v33, v20, s12, -v33
	v_add_f16_e32 v36, v36, v41
	v_fma_f16 v41, v22, s2, v40
	v_add_f16_e32 v33, v33, v39
	v_fma_f16 v39, v22, s18, v40
	v_mul_f16_e32 v40, 0xb853, v23
	v_add_f16_e32 v35, v35, v42
	v_fma_f16 v42, v20, s4, v40
	v_fma_f16 v40, v20, s4, -v40
	v_add_f16_e32 v39, v39, v60
	v_mul_f16_e32 v60, 0x3abb, v21
	v_add_f16_e32 v40, v40, v61
	v_mul_f16_e32 v61, 0xb482, v23
	v_add_f16_e32 v41, v41, v62
	v_add_f16_e32 v42, v42, v85
	v_fma_f16 v62, v22, s17, v60
	v_fma_f16 v60, v22, s16, v60
	;; [unrolled: 1-line block ×3, first 2 shown]
	v_fma_f16 v61, v20, s14, -v61
	v_mul_f16_e32 v23, 0x3b47, v23
	v_add_f16_e32 v60, v60, v86
	v_mul_f16_e32 v86, 0xbbad, v21
	v_add_f16_e32 v61, v61, v87
	v_fma_f16 v87, v20, s5, v23
	v_mul_f16_e32 v21, 0x36a6, v21
	v_fma_f16 v20, v20, s5, -v23
	v_add_f16_e32 v19, v20, v19
	v_fma_f16 v20, v22, s15, v21
	v_sub_f16_e32 v23, v24, v25
	v_add_f16_e32 v85, v85, v89
	v_fma_f16 v89, v22, s3, v21
	v_add_f16_e32 v18, v20, v18
	v_add_f16_e32 v20, v37, v38
	;; [unrolled: 1-line block ×3, first 2 shown]
	v_mul_f16_e32 v24, 0xb482, v23
	v_fma_f16 v25, v20, s14, v24
	v_add_f16_e32 v62, v62, v88
	v_fma_f16 v88, v22, s22, v86
	v_fma_f16 v86, v22, s21, v86
	v_sub_f16_e32 v22, v37, v38
	v_add_f16_e32 v25, v25, v34
	v_mul_f16_e32 v34, 0xbbad, v21
	v_fma_f16 v24, v20, s14, -v24
	v_add_f16_e32 v24, v24, v26
	v_fma_f16 v26, v22, s21, v34
	v_add_f16_e32 v26, v26, v27
	v_mul_f16_e32 v27, 0x3853, v23
	v_fma_f16 v37, v22, s22, v34
	v_fma_f16 v34, v20, s4, v27
	v_add_f16_e32 v34, v34, v35
	v_mul_f16_e32 v35, 0x3abb, v21
	v_fma_f16 v27, v20, s4, -v27
	v_add_f16_e32 v36, v37, v36
	v_fma_f16 v37, v22, s16, v35
	v_add_f16_e32 v27, v27, v33
	v_fma_f16 v33, v22, s17, v35
	v_mul_f16_e32 v35, 0xba0c, v23
	v_fma_f16 v38, v20, s13, v35
	v_fma_f16 v35, v20, s13, -v35
	v_add_f16_e32 v33, v33, v39
	v_mul_f16_e32 v39, 0xb93d, v21
	v_add_f16_e32 v35, v35, v40
	v_mul_f16_e32 v40, 0x3b47, v23
	v_add_f16_e32 v37, v37, v41
	v_add_f16_e32 v38, v38, v42
	v_fma_f16 v41, v22, s20, v39
	v_fma_f16 v39, v22, s19, v39
	;; [unrolled: 1-line block ×3, first 2 shown]
	v_fma_f16 v40, v20, s5, -v40
	v_mul_f16_e32 v23, 0xbbeb, v23
	v_add_f16_e32 v90, v90, v94
	v_add_f16_e32 v39, v39, v60
	v_mul_f16_e32 v60, 0x36a6, v21
	v_add_f16_e32 v40, v40, v61
	v_fma_f16 v61, v20, s12, v23
	v_mul_f16_e32 v21, 0xb08e, v21
	v_fma_f16 v20, v20, s12, -v23
	v_add_f16_e32 v96, v96, v98
	v_add_f16_e32 v95, v95, v99
	;; [unrolled: 1-line block ×5, first 2 shown]
	v_fma_f16 v62, v22, s3, v60
	v_fma_f16 v60, v22, s15, v60
	v_add_f16_e32 v19, v20, v19
	v_fma_f16 v20, v22, s2, v21
	v_add_f16_e32 v92, v92, v96
	v_add_f16_e32 v91, v91, v95
	;; [unrolled: 1-line block ×9, first 2 shown]
	v_fma_f16 v85, v22, s18, v21
	v_pack_b32_f16 v20, v58, v59
	v_pack_b32_f16 v21, v25, v36
	;; [unrolled: 1-line block ×4, first 2 shown]
	v_add_f16_e32 v62, v62, v88
	v_add_f16_e32 v61, v61, v87
	;; [unrolled: 1-line block ×3, first 2 shown]
	ds_write2_b32 v63, v20, v21 offset1:84
	v_pack_b32_f16 v20, v34, v37
	v_pack_b32_f16 v21, v38, v41
	ds_write2_b32 v57, v18, v19 offset0:120 offset1:204
	v_pack_b32_f16 v18, v35, v39
	v_pack_b32_f16 v19, v27, v33
	ds_write2_b32 v63, v20, v21 offset0:168 offset1:252
	;; [unrolled: 3-line block ×3, first 2 shown]
	v_pack_b32_f16 v18, v24, v26
	ds_write2_b32 v46, v20, v21 offset0:80 offset1:164
	ds_write_b32 v63, v18 offset:3360
	s_and_saveexec_b64 s[2:3], vcc
	s_cbranch_execz .LBB0_29
; %bb.28:
	v_mul_f16_sdwa v18, v0, v49 dst_sel:DWORD dst_unused:UNUSED_PAD src0_sel:WORD_1 src1_sel:DWORD
	v_mul_f16_sdwa v19, v32, v44 dst_sel:DWORD dst_unused:UNUSED_PAD src0_sel:WORD_1 src1_sel:DWORD
	v_fma_f16 v18, v0, v9, v18
	v_fma_f16 v19, v32, v43, v19
	v_mul_f16_sdwa v22, v32, v43 dst_sel:DWORD dst_unused:UNUSED_PAD src0_sel:WORD_1 src1_sel:DWORD
	v_mul_f16_sdwa v9, v0, v9 dst_sel:DWORD dst_unused:UNUSED_PAD src0_sel:WORD_1 src1_sel:DWORD
	;; [unrolled: 1-line block ×4, first 2 shown]
	v_sub_f16_e32 v20, v18, v19
	v_fma_f16 v22, v32, v44, -v22
	v_fma_f16 v0, v0, v49, -v9
	v_fma_f16 v24, v1, v10, v24
	v_fma_f16 v25, v31, v17, v25
	v_mul_f16_sdwa v17, v31, v17 dst_sel:DWORD dst_unused:UNUSED_PAD src0_sel:WORD_1 src1_sel:DWORD
	v_mul_f16_sdwa v10, v1, v10 dst_sel:DWORD dst_unused:UNUSED_PAD src0_sel:WORD_1 src1_sel:DWORD
	v_mul_f16_e32 v21, 0xb853, v20
	v_add_f16_e32 v9, v22, v0
	v_sub_f16_e32 v26, v24, v25
	v_fma_f16 v17, v31, v56, -v17
	v_fma_f16 v1, v1, v48, -v10
	v_fma_f16 v23, v9, s4, v21
	v_mul_f16_e32 v27, 0xbb47, v26
	v_add_f16_e32 v10, v17, v1
	v_add_f16_e32 v23, v47, v23
	v_fma_f16 v31, v10, s5, v27
	v_add_f16_e32 v23, v31, v23
	v_mul_f16_sdwa v31, v2, v50 dst_sel:DWORD dst_unused:UNUSED_PAD src0_sel:WORD_1 src1_sel:DWORD
	v_mul_f16_sdwa v32, v7, v55 dst_sel:DWORD dst_unused:UNUSED_PAD src0_sel:WORD_1 src1_sel:DWORD
	v_fma_f16 v31, v2, v11, v31
	v_fma_f16 v32, v7, v16, v32
	v_mul_f16_sdwa v16, v7, v16 dst_sel:DWORD dst_unused:UNUSED_PAD src0_sel:WORD_1 src1_sel:DWORD
	v_mul_f16_sdwa v11, v2, v11 dst_sel:DWORD dst_unused:UNUSED_PAD src0_sel:WORD_1 src1_sel:DWORD
	v_sub_f16_e32 v33, v31, v32
	v_fma_f16 v7, v7, v55, -v16
	v_fma_f16 v2, v2, v50, -v11
	v_mul_f16_e32 v34, 0xbbeb, v33
	v_add_f16_e32 v11, v7, v2
	v_fma_f16 v16, v11, s12, v34
	v_add_f16_e32 v16, v16, v23
	v_mul_f16_sdwa v23, v3, v51 dst_sel:DWORD dst_unused:UNUSED_PAD src0_sel:WORD_1 src1_sel:DWORD
	v_mul_f16_sdwa v35, v6, v54 dst_sel:DWORD dst_unused:UNUSED_PAD src0_sel:WORD_1 src1_sel:DWORD
	v_fma_f16 v23, v3, v12, v23
	v_fma_f16 v35, v6, v15, v35
	v_mul_f16_sdwa v15, v6, v15 dst_sel:DWORD dst_unused:UNUSED_PAD src0_sel:WORD_1 src1_sel:DWORD
	v_mul_f16_sdwa v12, v3, v12 dst_sel:DWORD dst_unused:UNUSED_PAD src0_sel:WORD_1 src1_sel:DWORD
	v_sub_f16_e32 v36, v23, v35
	v_fma_f16 v6, v6, v54, -v15
	v_fma_f16 v3, v3, v51, -v12
	v_mul_f16_e32 v37, 0xba0c, v36
	;; [unrolled: 13-line block ×3, first 2 shown]
	v_add_f16_e32 v13, v5, v4
	v_fma_f16 v14, v13, s14, v40
	v_sub_f16_e32 v41, v0, v22
	v_add_f16_e32 v14, v14, v15
	v_add_f16_e32 v15, v19, v18
	v_mul_f16_e32 v42, 0xb853, v41
	v_sub_f16_e32 v45, v1, v17
	v_fma_f16 v43, v15, s4, -v42
	v_add_f16_e32 v44, v25, v24
	v_mul_f16_e32 v46, 0xbb47, v45
	v_add_f16_e32 v43, v8, v43
	v_fma_f16 v48, v44, s5, -v46
	v_sub_f16_e32 v49, v2, v7
	v_add_f16_e32 v43, v48, v43
	v_add_f16_e32 v48, v32, v31
	v_mul_f16_e32 v50, 0xbbeb, v49
	v_fma_f16 v51, v48, s12, -v50
	v_sub_f16_e32 v52, v3, v6
	v_add_f16_e32 v43, v51, v43
	v_add_f16_e32 v51, v35, v23
	v_mul_f16_e32 v53, 0xba0c, v52
	;; [unrolled: 5-line block ×3, first 2 shown]
	v_fma_f16 v57, v54, s14, -v56
	v_add_f16_e32 v43, v57, v43
	v_mul_f16_e32 v57, 0xbb47, v20
	v_fma_f16 v58, v9, s5, v57
	v_mul_f16_e32 v59, 0xba0c, v26
	v_add_f16_e32 v58, v47, v58
	v_fma_f16 v60, v10, s13, v59
	v_add_f16_e32 v58, v60, v58
	v_mul_f16_e32 v60, 0x3482, v33
	v_fma_f16 v61, v11, s14, v60
	v_add_f16_e32 v58, v61, v58
	v_mul_f16_e32 v61, 0x3beb, v36
	v_fma_f16 v62, v12, s12, v61
	v_add_f16_e32 v58, v62, v58
	v_mul_f16_e32 v62, 0x3853, v39
	v_fma_f16 v85, v13, s4, v62
	v_add_f16_e32 v58, v85, v58
	v_mul_f16_e32 v85, 0xbb47, v41
	v_fma_f16 v86, v15, s5, -v85
	v_mul_f16_e32 v87, 0xba0c, v45
	v_add_f16_e32 v86, v8, v86
	v_fma_f16 v88, v44, s13, -v87
	v_add_f16_e32 v86, v88, v86
	v_mul_f16_e32 v88, 0x3482, v49
	v_fma_f16 v89, v48, s14, -v88
	v_add_f16_e32 v86, v89, v86
	v_mul_f16_e32 v89, 0x3beb, v52
	v_fma_f16 v90, v51, s12, -v89
	v_add_f16_e32 v86, v90, v86
	v_mul_f16_e32 v90, 0x3853, v55
	v_fma_f16 v91, v54, s4, -v90
	v_add_f16_e32 v86, v91, v86
	v_mul_f16_e32 v91, 0xbbeb, v20
	v_fma_f16 v92, v9, s12, v91
	v_mul_f16_e32 v93, 0x3482, v26
	v_add_f16_e32 v92, v47, v92
	v_fma_f16 v94, v10, s14, v93
	v_add_f16_e32 v92, v94, v92
	v_mul_f16_e32 v94, 0x3b47, v33
	v_fma_f16 v95, v11, s5, v94
	v_add_f16_e32 v92, v95, v92
	v_mul_f16_e32 v95, 0xb853, v36
	v_fma_f16 v96, v12, s4, v95
	v_add_f16_e32 v92, v96, v92
	v_mul_f16_e32 v96, 0xba0c, v39
	v_fma_f16 v97, v13, s13, v96
	v_add_f16_e32 v92, v97, v92
	v_mul_f16_e32 v97, 0xbbeb, v41
	v_fma_f16 v98, v15, s12, -v97
	v_mul_f16_e32 v99, 0x3482, v45
	v_add_f16_e32 v98, v8, v98
	v_fma_f16 v100, v44, s14, -v99
	v_add_f16_e32 v98, v100, v98
	v_mul_f16_e32 v100, 0x3b47, v49
	v_fma_f16 v101, v48, s5, -v100
	v_add_f16_e32 v98, v101, v98
	v_mul_f16_e32 v101, 0xb853, v52
	v_fma_f16 v102, v51, s4, -v101
	v_add_f16_e32 v98, v102, v98
	v_mul_f16_e32 v102, 0xba0c, v55
	;; [unrolled: 30-line block ×3, first 2 shown]
	v_fma_f16 v115, v54, s5, -v114
	v_mul_f16_e32 v20, 0xb482, v20
	v_add_f16_e32 v110, v115, v110
	v_fma_f16 v115, v9, s14, v20
	v_mul_f16_e32 v26, 0x3853, v26
	v_fma_f16 v20, v9, s14, -v20
	v_fma_f16 v116, v10, s4, v26
	v_mul_f16_e32 v33, 0xba0c, v33
	v_add_f16_e32 v20, v47, v20
	v_fma_f16 v26, v10, s4, -v26
	v_mul_f16_e32 v36, 0x3b47, v36
	v_add_f16_e32 v20, v26, v20
	v_fma_f16 v26, v11, s13, -v33
	;; [unrolled: 3-line block ×4, first 2 shown]
	v_add_f16_e32 v115, v47, v115
	v_mul_f16_e32 v45, 0x3853, v45
	v_add_f16_e32 v20, v26, v20
	v_fma_f16 v26, v15, s14, v41
	v_add_f16_e32 v115, v116, v115
	v_fma_f16 v116, v11, s13, v33
	v_mul_f16_e32 v49, 0xba0c, v49
	v_add_f16_e32 v26, v8, v26
	v_fma_f16 v33, v44, s4, v45
	v_mul_f16_e32 v52, 0x3b47, v52
	;; [unrolled: 3-line block ×3, first 2 shown]
	v_add_f16_e32 v26, v33, v26
	v_fma_f16 v33, v51, s5, v52
	v_add_f16_e32 v26, v33, v26
	v_fma_f16 v33, v54, s12, v55
	v_add_f16_e32 v26, v33, v26
	v_fma_f16 v33, v9, s13, -v103
	v_add_f16_e32 v115, v116, v115
	v_fma_f16 v116, v12, s5, v36
	v_add_f16_e32 v33, v47, v33
	v_fma_f16 v36, v10, s12, -v105
	v_add_f16_e32 v33, v36, v33
	v_fma_f16 v36, v11, s4, -v106
	;; [unrolled: 2-line block ×4, first 2 shown]
	v_add_f16_e32 v33, v36, v33
	v_fma_f16 v36, v15, s13, v109
	v_add_f16_e32 v115, v116, v115
	v_fma_f16 v116, v13, s12, v39
	;; [unrolled: 2-line block ×6, first 2 shown]
	v_add_f16_e32 v36, v39, v36
	v_fma_f16 v39, v9, s12, -v91
	v_add_f16_e32 v115, v116, v115
	v_fma_f16 v116, v15, s14, -v41
	;; [unrolled: 2-line block ×6, first 2 shown]
	v_add_f16_e32 v39, v41, v39
	v_fma_f16 v41, v15, s12, v97
	v_fma_f16 v117, v44, s4, -v45
	v_add_f16_e32 v41, v8, v41
	v_fma_f16 v45, v44, s14, v99
	v_add_f16_e32 v41, v45, v41
	v_fma_f16 v45, v48, s5, v100
	;; [unrolled: 2-line block ×4, first 2 shown]
	v_add_f16_e32 v116, v8, v116
	v_add_f16_e32 v41, v45, v41
	v_fma_f16 v45, v9, s5, -v57
	v_fma_f16 v9, v9, s4, -v21
	v_add_f16_e32 v116, v117, v116
	v_fma_f16 v117, v48, s13, -v49
	v_add_f16_e32 v45, v47, v45
	;; [unrolled: 2-line block ×10, first 2 shown]
	v_fma_f16 v49, v15, s5, v85
	v_add_f16_e32 v9, v10, v9
	v_fma_f16 v10, v15, s4, v42
	v_add_f16_e32 v49, v8, v49
	v_add_f16_e32 v10, v8, v10
	;; [unrolled: 1-line block ×12, first 2 shown]
	v_fma_f16 v11, v44, s5, v46
	v_add_f16_e32 v8, v38, v8
	v_add_f16_e32 v0, v5, v0
	;; [unrolled: 1-line block ×3, first 2 shown]
	v_fma_f16 v117, v51, s5, -v52
	v_fma_f16 v52, v44, s13, v87
	v_add_f16_e32 v10, v11, v10
	v_fma_f16 v11, v48, s12, v50
	v_add_f16_e32 v8, v35, v8
	v_add_f16_e32 v0, v6, v0
	v_add_f16_e32 v49, v52, v49
	v_fma_f16 v52, v48, s14, v88
	v_add_f16_e32 v10, v11, v10
	v_fma_f16 v11, v51, s13, v53
	v_add_f16_e32 v8, v32, v8
	v_add_f16_e32 v0, v7, v0
	v_add_f16_e32 v49, v52, v49
	;; [unrolled: 6-line block ×3, first 2 shown]
	v_fma_f16 v52, v54, s4, v90
	v_add_f16_e32 v10, v11, v10
	v_add_f16_e32 v8, v19, v8
	;; [unrolled: 1-line block ×4, first 2 shown]
	v_pack_b32_f16 v0, v8, v0
	v_pack_b32_f16 v1, v10, v9
	v_add_f16_e32 v116, v117, v116
	v_fma_f16 v117, v54, s12, -v55
	ds_write2_b32 v63, v0, v1 offset0:44 offset1:128
	v_pack_b32_f16 v0, v49, v45
	v_pack_b32_f16 v1, v41, v39
	v_add_u32_e32 v2, 0x200, v63
	v_add_f16_e32 v116, v117, v116
	ds_write2_b32 v2, v0, v1 offset0:84 offset1:168
	v_pack_b32_f16 v0, v36, v33
	v_pack_b32_f16 v1, v26, v20
	v_add_u32_e32 v2, 0x400, v63
	ds_write2_b32 v2, v0, v1 offset0:124 offset1:208
	v_pack_b32_f16 v0, v116, v115
	v_pack_b32_f16 v1, v110, v104
	v_add_u32_e32 v2, 0x800, v63
	;; [unrolled: 4-line block ×3, first 2 shown]
	ds_write2_b32 v2, v0, v1 offset0:76 offset1:160
	v_pack_b32_f16 v0, v43, v14
	ds_write_b32 v63, v0 offset:3536
.LBB0_29:
	s_or_b64 exec, exec, s[2:3]
	s_waitcnt lgkmcnt(0)
	; wave barrier
	s_waitcnt lgkmcnt(0)
	ds_read2_b32 v[3:4], v63 offset1:44
	s_mov_b32 s12, 0x4046ed29
	s_mov_b32 s13, 0x3f51bb4a
	v_mad_u64_u32 v[5:6], s[2:3], s10, v30, 0
	s_waitcnt lgkmcnt(0)
	v_lshrrev_b32_e32 v8, 16, v3
	v_mul_f16_sdwa v0, v84, v8 dst_sel:DWORD dst_unused:UNUSED_PAD src0_sel:WORD_1 src1_sel:DWORD
	v_fma_f16 v0, v84, v3, v0
	v_cvt_f32_f16_e32 v0, v0
	v_mov_b32_e32 v2, v6
	v_mad_u64_u32 v[6:7], s[2:3], s11, v30, v[2:3]
	v_cvt_f64_f32_e32 v[0:1], v0
	s_movk_i32 s11, 0x1ff
	s_movk_i32 s10, 0xffe
	v_mul_f16_sdwa v3, v84, v3 dst_sel:DWORD dst_unused:UNUSED_PAD src0_sel:WORD_1 src1_sel:DWORD
	v_mul_f64 v[0:1], v[0:1], s[12:13]
	v_fma_f16 v3, v84, v8, -v3
	v_cvt_f32_f16_e32 v3, v3
	s_movk_i32 s14, 0x40f
	s_mov_b32 s15, 0x8000
	v_lshlrev_b64 v[5:6], 2, v[5:6]
	v_and_or_b32 v0, v1, s11, v0
	v_cmp_ne_u32_e32 vcc, 0, v0
	v_lshrrev_b32_e32 v2, 8, v1
	v_bfe_u32 v7, v1, 20, 11
	v_cndmask_b32_e64 v0, 0, 1, vcc
	v_sub_u32_e32 v9, 0x3f1, v7
	v_and_or_b32 v0, v2, s10, v0
	v_med3_i32 v2, v9, 0, 13
	v_or_b32_e32 v9, 0x1000, v0
	v_lshrrev_b32_e32 v10, v2, v9
	v_lshlrev_b32_e32 v2, v2, v10
	v_cmp_ne_u32_e32 vcc, v2, v9
	v_cndmask_b32_e64 v2, 0, 1, vcc
	v_add_u32_e32 v9, 0xfffffc10, v7
	v_or_b32_e32 v2, v10, v2
	v_lshl_or_b32 v7, v9, 12, v0
	v_cmp_gt_i32_e32 vcc, 1, v9
	v_cndmask_b32_e32 v2, v7, v2, vcc
	v_and_b32_e32 v7, 7, v2
	v_cmp_lt_i32_e32 vcc, 5, v7
	v_cmp_eq_u32_e64 s[2:3], 3, v7
	v_cvt_f64_f32_e32 v[7:8], v3
	v_lshrrev_b32_e32 v2, 2, v2
	s_or_b64 vcc, s[2:3], vcc
	v_addc_co_u32_e32 v10, vcc, 0, v2, vcc
	v_mul_f64 v[7:8], v[7:8], s[12:13]
	v_mov_b32_e32 v2, 0x7c00
	v_cmp_gt_i32_e32 vcc, 31, v9
	v_cndmask_b32_e32 v3, v2, v10, vcc
	v_cmp_ne_u32_e32 vcc, 0, v0
	v_cndmask_b32_e64 v0, 0, 1, vcc
	v_lshl_or_b32 v0, v0, 9, v2
	v_cmp_eq_u32_e32 vcc, s14, v9
	v_cndmask_b32_e32 v0, v3, v0, vcc
	v_lshrrev_b32_e32 v1, 16, v1
	v_and_or_b32 v11, v1, s15, v0
	v_and_or_b32 v0, v8, s11, v7
	v_cmp_ne_u32_e32 vcc, 0, v0
	v_cndmask_b32_e64 v0, 0, 1, vcc
	v_lshrrev_b32_e32 v1, 8, v8
	v_bfe_u32 v3, v8, 20, 11
	v_and_or_b32 v0, v1, s10, v0
	v_sub_u32_e32 v7, 0x3f1, v3
	v_or_b32_e32 v1, 0x1000, v0
	v_med3_i32 v7, v7, 0, 13
	v_lshrrev_b32_e32 v9, v7, v1
	v_lshlrev_b32_e32 v7, v7, v9
	v_cmp_ne_u32_e32 vcc, v7, v1
	v_cndmask_b32_e64 v1, 0, 1, vcc
	v_add_u32_e32 v3, 0xfffffc10, v3
	v_or_b32_e32 v1, v9, v1
	v_lshl_or_b32 v7, v3, 12, v0
	v_cmp_gt_i32_e32 vcc, 1, v3
	v_cndmask_b32_e32 v1, v7, v1, vcc
	v_and_b32_e32 v7, 7, v1
	v_cmp_lt_i32_e32 vcc, 5, v7
	v_cmp_eq_u32_e64 s[2:3], 3, v7
	v_lshrrev_b32_e32 v1, 2, v1
	s_or_b64 vcc, s[2:3], vcc
	v_addc_co_u32_e32 v1, vcc, 0, v1, vcc
	v_cmp_gt_i32_e32 vcc, 31, v3
	v_cndmask_b32_e32 v1, v2, v1, vcc
	v_cmp_ne_u32_e32 vcc, 0, v0
	v_cndmask_b32_e64 v0, 0, 1, vcc
	v_cmp_eq_u32_e32 vcc, s14, v3
	v_add_u32_e32 v3, 0x400, v63
	ds_read2_b32 v[9:10], v3 offset0:206 offset1:250
	v_lshl_or_b32 v0, v0, 9, v2
	v_cndmask_b32_e32 v12, v1, v0, vcc
	v_mad_u64_u32 v[0:1], s[2:3], s8, v83, 0
	s_waitcnt lgkmcnt(0)
	v_lshrrev_b32_e32 v14, 16, v9
	v_lshrrev_b32_e32 v13, 16, v8
	v_mad_u64_u32 v[7:8], s[2:3], s9, v83, v[1:2]
	v_mul_f16_sdwa v1, v82, v14 dst_sel:DWORD dst_unused:UNUSED_PAD src0_sel:WORD_1 src1_sel:DWORD
	v_fma_f16 v1, v82, v9, v1
	v_cvt_f32_f16_e32 v8, v1
	v_mov_b32_e32 v1, v7
	v_and_or_b32 v12, v13, s15, v12
	v_and_b32_e32 v11, 0xffff, v11
	v_cvt_f64_f32_e32 v[7:8], v8
	v_lshl_or_b32 v11, v12, 16, v11
	v_mov_b32_e32 v12, s7
	v_add_co_u32_e32 v5, vcc, s6, v5
	v_mul_f64 v[7:8], v[7:8], s[12:13]
	v_lshlrev_b64 v[0:1], 2, v[0:1]
	v_addc_co_u32_e32 v6, vcc, v12, v6, vcc
	v_add_co_u32_e32 v5, vcc, v5, v0
	v_addc_co_u32_e32 v6, vcc, v6, v1, vcc
	v_and_or_b32 v0, v8, s11, v7
	v_cmp_ne_u32_e32 vcc, 0, v0
	v_cndmask_b32_e64 v0, 0, 1, vcc
	v_lshrrev_b32_e32 v1, 8, v8
	v_and_or_b32 v7, v1, s10, v0
	v_bfe_u32 v1, v8, 20, 11
	global_store_dword v[5:6], v11, off
	v_sub_u32_e32 v11, 0x3f1, v1
	v_or_b32_e32 v0, 0x1000, v7
	v_med3_i32 v11, v11, 0, 13
	v_lshrrev_b32_e32 v12, v11, v0
	v_lshlrev_b32_e32 v11, v11, v12
	v_mul_f16_sdwa v9, v82, v9 dst_sel:DWORD dst_unused:UNUSED_PAD src0_sel:WORD_1 src1_sel:DWORD
	v_cmp_ne_u32_e32 vcc, v11, v0
	v_fma_f16 v9, v82, v14, -v9
	v_cndmask_b32_e64 v0, 0, 1, vcc
	v_add_u32_e32 v11, 0xfffffc10, v1
	v_cvt_f32_f16_e32 v9, v9
	v_or_b32_e32 v0, v12, v0
	v_lshl_or_b32 v1, v11, 12, v7
	v_cmp_gt_i32_e32 vcc, 1, v11
	v_cndmask_b32_e32 v0, v1, v0, vcc
	v_and_b32_e32 v1, 7, v0
	v_cmp_lt_i32_e32 vcc, 5, v1
	v_cmp_eq_u32_e64 s[2:3], 3, v1
	v_lshrrev_b32_e32 v12, 2, v0
	v_cvt_f64_f32_e32 v[0:1], v9
	s_or_b64 vcc, s[2:3], vcc
	v_addc_co_u32_e32 v9, vcc, 0, v12, vcc
	v_mul_f64 v[0:1], v[0:1], s[12:13]
	v_cmp_gt_i32_e32 vcc, 31, v11
	v_cndmask_b32_e32 v9, v2, v9, vcc
	v_cmp_ne_u32_e32 vcc, 0, v7
	v_cndmask_b32_e64 v7, 0, 1, vcc
	v_lshl_or_b32 v7, v7, 9, v2
	v_cmp_eq_u32_e32 vcc, s14, v11
	v_cndmask_b32_e32 v7, v9, v7, vcc
	v_and_or_b32 v0, v1, s11, v0
	v_lshrrev_b32_e32 v8, 16, v8
	v_cmp_ne_u32_e32 vcc, 0, v0
	v_and_or_b32 v7, v8, s15, v7
	v_cndmask_b32_e64 v0, 0, 1, vcc
	v_lshrrev_b32_e32 v8, 8, v1
	v_bfe_u32 v9, v1, 20, 11
	v_and_or_b32 v0, v8, s10, v0
	v_sub_u32_e32 v11, 0x3f1, v9
	v_or_b32_e32 v8, 0x1000, v0
	v_med3_i32 v11, v11, 0, 13
	v_lshrrev_b32_e32 v12, v11, v8
	v_lshlrev_b32_e32 v11, v11, v12
	v_cmp_ne_u32_e32 vcc, v11, v8
	v_cndmask_b32_e64 v8, 0, 1, vcc
	v_add_u32_e32 v9, 0xfffffc10, v9
	v_or_b32_e32 v8, v12, v8
	v_lshl_or_b32 v11, v9, 12, v0
	v_cmp_gt_i32_e32 vcc, 1, v9
	v_cndmask_b32_e32 v8, v11, v8, vcc
	v_and_b32_e32 v11, 7, v8
	v_cmp_lt_i32_e32 vcc, 5, v11
	v_cmp_eq_u32_e64 s[2:3], 3, v11
	v_lshrrev_b32_e32 v8, 2, v8
	s_or_b64 vcc, s[2:3], vcc
	v_addc_co_u32_e32 v8, vcc, 0, v8, vcc
	v_cmp_gt_i32_e32 vcc, 31, v9
	v_cndmask_b32_e32 v8, v2, v8, vcc
	v_cmp_ne_u32_e32 vcc, 0, v0
	v_cndmask_b32_e64 v0, 0, 1, vcc
	v_lshl_or_b32 v0, v0, 9, v2
	v_cmp_eq_u32_e32 vcc, s14, v9
	v_cndmask_b32_e32 v0, v8, v0, vcc
	v_lshrrev_b32_e32 v1, 16, v1
	v_lshrrev_b32_e32 v9, 16, v4
	v_and_or_b32 v8, v1, s15, v0
	v_mul_f16_sdwa v0, v81, v9 dst_sel:DWORD dst_unused:UNUSED_PAD src0_sel:WORD_1 src1_sel:DWORD
	v_fma_f16 v0, v81, v4, v0
	v_cvt_f32_f16_e32 v0, v0
	v_and_b32_e32 v7, 0xffff, v7
	v_lshl_or_b32 v11, v8, 16, v7
	s_mul_i32 s2, s9, 0x1ce
	v_cvt_f64_f32_e32 v[0:1], v0
	s_mul_hi_u32 s3, s8, 0x1ce
	s_add_i32 s3, s3, s2
	s_mul_i32 s2, s8, 0x1ce
	v_mul_f64 v[7:8], v[0:1], s[12:13]
	s_lshl_b64 s[6:7], s[2:3], 2
	v_mov_b32_e32 v1, s7
	v_add_co_u32_e32 v5, vcc, s6, v5
	v_addc_co_u32_e32 v6, vcc, v6, v1, vcc
	global_store_dword v[5:6], v11, off
	v_and_or_b32 v0, v8, s11, v7
	v_cmp_ne_u32_e32 vcc, 0, v0
	v_cndmask_b32_e64 v0, 0, 1, vcc
	v_lshrrev_b32_e32 v7, 8, v8
	v_bfe_u32 v11, v8, 20, 11
	v_and_or_b32 v0, v7, s10, v0
	v_sub_u32_e32 v12, 0x3f1, v11
	v_or_b32_e32 v7, 0x1000, v0
	v_med3_i32 v12, v12, 0, 13
	v_lshrrev_b32_e32 v13, v12, v7
	v_lshlrev_b32_e32 v12, v12, v13
	v_cmp_ne_u32_e32 vcc, v12, v7
	v_mul_f16_sdwa v4, v81, v4 dst_sel:DWORD dst_unused:UNUSED_PAD src0_sel:WORD_1 src1_sel:DWORD
	v_cndmask_b32_e64 v7, 0, 1, vcc
	v_fma_f16 v4, v81, v9, -v4
	v_or_b32_e32 v7, v13, v7
	v_add_u32_e32 v13, 0xfffffc10, v11
	v_cvt_f32_f16_e32 v4, v4
	v_lshl_or_b32 v11, v13, 12, v0
	v_cmp_gt_i32_e32 vcc, 1, v13
	v_cndmask_b32_e32 v7, v11, v7, vcc
	v_and_b32_e32 v11, 7, v7
	v_cmp_lt_i32_e32 vcc, 5, v11
	v_cmp_eq_u32_e64 s[2:3], 3, v11
	v_cvt_f64_f32_e32 v[11:12], v4
	v_lshrrev_b32_e32 v7, 2, v7
	s_or_b64 vcc, s[2:3], vcc
	v_addc_co_u32_e32 v4, vcc, 0, v7, vcc
	v_mul_f64 v[11:12], v[11:12], s[12:13]
	v_cmp_gt_i32_e32 vcc, 31, v13
	v_cndmask_b32_e32 v4, v2, v4, vcc
	v_cmp_ne_u32_e32 vcc, 0, v0
	v_cndmask_b32_e64 v0, 0, 1, vcc
	v_lshl_or_b32 v0, v0, 9, v2
	v_cmp_eq_u32_e32 vcc, s14, v13
	v_cndmask_b32_e32 v0, v4, v0, vcc
	v_lshrrev_b32_e32 v4, 16, v8
	v_and_or_b32 v0, v4, s15, v0
	v_and_or_b32 v4, v12, s11, v11
	v_cmp_ne_u32_e32 vcc, 0, v4
	v_cndmask_b32_e64 v4, 0, 1, vcc
	v_lshrrev_b32_e32 v7, 8, v12
	v_bfe_u32 v8, v12, 20, 11
	v_and_or_b32 v4, v7, s10, v4
	v_sub_u32_e32 v9, 0x3f1, v8
	v_or_b32_e32 v7, 0x1000, v4
	v_med3_i32 v9, v9, 0, 13
	v_lshrrev_b32_e32 v11, v9, v7
	v_lshlrev_b32_e32 v9, v9, v11
	v_cmp_ne_u32_e32 vcc, v9, v7
	v_cndmask_b32_e64 v7, 0, 1, vcc
	v_add_u32_e32 v8, 0xfffffc10, v8
	v_or_b32_e32 v7, v11, v7
	v_lshl_or_b32 v9, v8, 12, v4
	v_cmp_gt_i32_e32 vcc, 1, v8
	v_cndmask_b32_e32 v7, v9, v7, vcc
	v_and_b32_e32 v9, 7, v7
	v_cmp_lt_i32_e32 vcc, 5, v9
	v_cmp_eq_u32_e64 s[2:3], 3, v9
	v_lshrrev_b32_e32 v7, 2, v7
	s_or_b64 vcc, s[2:3], vcc
	v_addc_co_u32_e32 v7, vcc, 0, v7, vcc
	v_cmp_gt_i32_e32 vcc, 31, v8
	v_cndmask_b32_e32 v7, v2, v7, vcc
	v_cmp_ne_u32_e32 vcc, 0, v4
	v_cndmask_b32_e64 v4, 0, 1, vcc
	v_lshl_or_b32 v4, v4, 9, v2
	v_cmp_eq_u32_e32 vcc, s14, v8
	v_cndmask_b32_e32 v4, v7, v4, vcc
	v_lshrrev_b32_e32 v7, 16, v12
	v_lshrrev_b32_e32 v9, 16, v10
	v_and_or_b32 v4, v7, s15, v4
	v_mul_f16_sdwa v7, v80, v9 dst_sel:DWORD dst_unused:UNUSED_PAD src0_sel:WORD_1 src1_sel:DWORD
	v_fma_f16 v7, v80, v10, v7
	v_cvt_f32_f16_e32 v7, v7
	s_mul_hi_u32 s3, s8, 0xfffffe5e
	s_mul_i32 s2, s9, 0xfffffe5e
	s_sub_i32 s3, s3, s8
	v_cvt_f64_f32_e32 v[7:8], v7
	s_add_i32 s3, s3, s2
	s_mul_i32 s2, s8, 0xfffffe5e
	v_and_b32_e32 v0, 0xffff, v0
	v_mul_f64 v[7:8], v[7:8], s[12:13]
	s_lshl_b64 s[4:5], s[2:3], 2
	v_lshl_or_b32 v11, v4, 16, v0
	v_mov_b32_e32 v0, s5
	v_add_co_u32_e32 v4, vcc, s4, v5
	v_addc_co_u32_e32 v5, vcc, v6, v0, vcc
	v_and_or_b32 v6, v8, s11, v7
	v_cmp_ne_u32_e32 vcc, 0, v6
	v_cndmask_b32_e64 v6, 0, 1, vcc
	v_lshrrev_b32_e32 v7, 8, v8
	global_store_dword v[4:5], v11, off
	v_and_or_b32 v11, v7, s10, v6
	v_bfe_u32 v7, v8, 20, 11
	v_sub_u32_e32 v12, 0x3f1, v7
	v_or_b32_e32 v6, 0x1000, v11
	v_med3_i32 v12, v12, 0, 13
	v_lshrrev_b32_e32 v13, v12, v6
	v_lshlrev_b32_e32 v12, v12, v13
	v_mul_f16_sdwa v10, v80, v10 dst_sel:DWORD dst_unused:UNUSED_PAD src0_sel:WORD_1 src1_sel:DWORD
	v_cmp_ne_u32_e32 vcc, v12, v6
	v_fma_f16 v9, v80, v9, -v10
	v_cndmask_b32_e64 v6, 0, 1, vcc
	v_add_u32_e32 v12, 0xfffffc10, v7
	v_cvt_f32_f16_e32 v9, v9
	v_or_b32_e32 v6, v13, v6
	v_lshl_or_b32 v7, v12, 12, v11
	v_cmp_gt_i32_e32 vcc, 1, v12
	v_cndmask_b32_e32 v6, v7, v6, vcc
	v_and_b32_e32 v7, 7, v6
	v_cmp_lt_i32_e32 vcc, 5, v7
	v_cmp_eq_u32_e64 s[2:3], 3, v7
	v_lshrrev_b32_e32 v10, 2, v6
	v_cvt_f64_f32_e32 v[6:7], v9
	s_or_b64 vcc, s[2:3], vcc
	v_addc_co_u32_e32 v9, vcc, 0, v10, vcc
	v_mul_f64 v[6:7], v[6:7], s[12:13]
	v_cmp_gt_i32_e32 vcc, 31, v12
	v_cndmask_b32_e32 v9, v2, v9, vcc
	v_cmp_ne_u32_e32 vcc, 0, v11
	v_cndmask_b32_e64 v10, 0, 1, vcc
	v_lshl_or_b32 v10, v10, 9, v2
	v_cmp_eq_u32_e32 vcc, s14, v12
	v_cndmask_b32_e32 v9, v9, v10, vcc
	v_and_or_b32 v6, v7, s11, v6
	v_lshrrev_b32_e32 v8, 16, v8
	v_cmp_ne_u32_e32 vcc, 0, v6
	v_and_or_b32 v12, v8, s15, v9
	v_cndmask_b32_e64 v6, 0, 1, vcc
	v_lshrrev_b32_e32 v8, 8, v7
	v_bfe_u32 v9, v7, 20, 11
	v_and_or_b32 v6, v8, s10, v6
	v_sub_u32_e32 v10, 0x3f1, v9
	v_or_b32_e32 v8, 0x1000, v6
	v_med3_i32 v10, v10, 0, 13
	v_lshrrev_b32_e32 v11, v10, v8
	v_lshlrev_b32_e32 v10, v10, v11
	v_cmp_ne_u32_e32 vcc, v10, v8
	v_cndmask_b32_e64 v8, 0, 1, vcc
	v_add_u32_e32 v13, 0xfffffc10, v9
	v_or_b32_e32 v8, v11, v8
	v_lshl_or_b32 v9, v13, 12, v6
	v_cmp_gt_i32_e32 vcc, 1, v13
	v_cndmask_b32_e32 v8, v9, v8, vcc
	v_and_b32_e32 v9, 7, v8
	v_cmp_lt_i32_e32 vcc, 5, v9
	v_cmp_eq_u32_e64 s[2:3], 3, v9
	v_lshrrev_b32_e32 v10, 2, v8
	ds_read2_b32 v[8:9], v63 offset0:88 offset1:132
	s_or_b64 vcc, s[2:3], vcc
	v_addc_co_u32_e32 v10, vcc, 0, v10, vcc
	v_cmp_gt_i32_e32 vcc, 31, v13
	s_waitcnt lgkmcnt(0)
	v_lshrrev_b32_e32 v15, 16, v8
	v_cndmask_b32_e32 v14, v2, v10, vcc
	v_mul_f16_sdwa v10, v79, v15 dst_sel:DWORD dst_unused:UNUSED_PAD src0_sel:WORD_1 src1_sel:DWORD
	v_fma_f16 v10, v79, v8, v10
	v_cvt_f32_f16_e32 v10, v10
	v_cmp_ne_u32_e32 vcc, 0, v6
	v_cndmask_b32_e64 v6, 0, 1, vcc
	v_lshl_or_b32 v6, v6, 9, v2
	v_cvt_f64_f32_e32 v[10:11], v10
	v_cmp_eq_u32_e32 vcc, s14, v13
	v_cndmask_b32_e32 v6, v14, v6, vcc
	v_lshrrev_b32_e32 v7, 16, v7
	v_and_or_b32 v13, v7, s15, v6
	v_mul_f64 v[6:7], v[10:11], s[12:13]
	v_add_co_u32_e32 v4, vcc, s6, v4
	v_and_b32_e32 v10, 0xffff, v12
	v_addc_co_u32_e32 v5, vcc, v5, v1, vcc
	v_lshl_or_b32 v10, v13, 16, v10
	global_store_dword v[4:5], v10, off
	v_and_or_b32 v6, v7, s11, v6
	v_cmp_ne_u32_e32 vcc, 0, v6
	v_cndmask_b32_e64 v6, 0, 1, vcc
	v_lshrrev_b32_e32 v10, 8, v7
	v_bfe_u32 v11, v7, 20, 11
	v_and_or_b32 v6, v10, s10, v6
	v_sub_u32_e32 v12, 0x3f1, v11
	v_or_b32_e32 v10, 0x1000, v6
	v_med3_i32 v12, v12, 0, 13
	v_lshrrev_b32_e32 v13, v12, v10
	v_lshlrev_b32_e32 v12, v12, v13
	v_mul_f16_sdwa v8, v79, v8 dst_sel:DWORD dst_unused:UNUSED_PAD src0_sel:WORD_1 src1_sel:DWORD
	v_cmp_ne_u32_e32 vcc, v12, v10
	v_fma_f16 v8, v79, v15, -v8
	v_cndmask_b32_e64 v10, 0, 1, vcc
	v_add_u32_e32 v12, 0xfffffc10, v11
	v_cvt_f32_f16_e32 v8, v8
	v_or_b32_e32 v10, v13, v10
	v_lshl_or_b32 v11, v12, 12, v6
	v_cmp_gt_i32_e32 vcc, 1, v12
	v_cndmask_b32_e32 v10, v11, v10, vcc
	v_and_b32_e32 v11, 7, v10
	v_cmp_lt_i32_e32 vcc, 5, v11
	v_cmp_eq_u32_e64 s[2:3], 3, v11
	v_lshrrev_b32_e32 v13, 2, v10
	v_cvt_f64_f32_e32 v[10:11], v8
	s_or_b64 vcc, s[2:3], vcc
	v_addc_co_u32_e32 v8, vcc, 0, v13, vcc
	v_mul_f64 v[10:11], v[10:11], s[12:13]
	v_cmp_gt_i32_e32 vcc, 31, v12
	v_cndmask_b32_e32 v8, v2, v8, vcc
	v_cmp_ne_u32_e32 vcc, 0, v6
	v_cndmask_b32_e64 v6, 0, 1, vcc
	v_lshl_or_b32 v6, v6, 9, v2
	v_cmp_eq_u32_e32 vcc, s14, v12
	v_cndmask_b32_e32 v6, v8, v6, vcc
	v_lshrrev_b32_e32 v7, 16, v7
	v_and_or_b32 v8, v7, s15, v6
	v_and_or_b32 v6, v11, s11, v10
	v_cmp_ne_u32_e32 vcc, 0, v6
	v_cndmask_b32_e64 v6, 0, 1, vcc
	v_lshrrev_b32_e32 v7, 8, v11
	v_and_or_b32 v10, v7, s10, v6
	v_bfe_u32 v7, v11, 20, 11
	v_sub_u32_e32 v12, 0x3f1, v7
	v_or_b32_e32 v6, 0x1000, v10
	v_med3_i32 v12, v12, 0, 13
	v_lshrrev_b32_e32 v13, v12, v6
	v_lshlrev_b32_e32 v12, v12, v13
	v_cmp_ne_u32_e32 vcc, v12, v6
	v_cndmask_b32_e64 v6, 0, 1, vcc
	v_add_u32_e32 v14, 0xfffffc10, v7
	v_or_b32_e32 v6, v13, v6
	v_lshl_or_b32 v7, v14, 12, v10
	v_cmp_gt_i32_e32 vcc, 1, v14
	v_cndmask_b32_e32 v6, v7, v6, vcc
	v_and_b32_e32 v7, 7, v6
	v_add_u32_e32 v15, 0x800, v63
	v_cmp_lt_i32_e32 vcc, 5, v7
	v_cmp_eq_u32_e64 s[2:3], 3, v7
	v_lshrrev_b32_e32 v12, 2, v6
	ds_read2_b32 v[6:7], v15 offset0:38 offset1:82
	s_or_b64 vcc, s[2:3], vcc
	v_addc_co_u32_e32 v12, vcc, 0, v12, vcc
	v_cmp_gt_i32_e32 vcc, 31, v14
	s_waitcnt lgkmcnt(0)
	v_lshrrev_b32_e32 v17, 16, v6
	v_cndmask_b32_e32 v16, v2, v12, vcc
	v_mul_f16_sdwa v12, v78, v17 dst_sel:DWORD dst_unused:UNUSED_PAD src0_sel:WORD_1 src1_sel:DWORD
	v_fma_f16 v12, v78, v6, v12
	v_cvt_f32_f16_e32 v12, v12
	v_cmp_ne_u32_e32 vcc, 0, v10
	v_cndmask_b32_e64 v10, 0, 1, vcc
	v_lshl_or_b32 v10, v10, 9, v2
	v_cvt_f64_f32_e32 v[12:13], v12
	v_cmp_eq_u32_e32 vcc, s14, v14
	v_cndmask_b32_e32 v10, v16, v10, vcc
	v_lshrrev_b32_e32 v11, 16, v11
	v_and_or_b32 v14, v11, s15, v10
	v_mul_f64 v[10:11], v[12:13], s[12:13]
	v_and_b32_e32 v8, 0xffff, v8
	v_add_co_u32_e32 v4, vcc, s4, v4
	v_lshl_or_b32 v8, v14, 16, v8
	v_addc_co_u32_e32 v5, vcc, v5, v0, vcc
	global_store_dword v[4:5], v8, off
	v_and_or_b32 v8, v11, s11, v10
	v_cmp_ne_u32_e32 vcc, 0, v8
	v_cndmask_b32_e64 v8, 0, 1, vcc
	v_lshrrev_b32_e32 v10, 8, v11
	v_bfe_u32 v12, v11, 20, 11
	v_and_or_b32 v8, v10, s10, v8
	v_sub_u32_e32 v13, 0x3f1, v12
	v_or_b32_e32 v10, 0x1000, v8
	v_med3_i32 v13, v13, 0, 13
	v_lshrrev_b32_e32 v14, v13, v10
	v_lshlrev_b32_e32 v13, v13, v14
	v_cmp_ne_u32_e32 vcc, v13, v10
	v_mul_f16_sdwa v6, v78, v6 dst_sel:DWORD dst_unused:UNUSED_PAD src0_sel:WORD_1 src1_sel:DWORD
	v_cndmask_b32_e64 v10, 0, 1, vcc
	v_fma_f16 v6, v78, v17, -v6
	v_or_b32_e32 v10, v14, v10
	v_add_u32_e32 v14, 0xfffffc10, v12
	v_cvt_f32_f16_e32 v6, v6
	v_lshl_or_b32 v12, v14, 12, v8
	v_cmp_gt_i32_e32 vcc, 1, v14
	v_cndmask_b32_e32 v10, v12, v10, vcc
	v_and_b32_e32 v12, 7, v10
	v_cmp_lt_i32_e32 vcc, 5, v12
	v_cmp_eq_u32_e64 s[2:3], 3, v12
	v_cvt_f64_f32_e32 v[12:13], v6
	v_lshrrev_b32_e32 v10, 2, v10
	s_or_b64 vcc, s[2:3], vcc
	v_addc_co_u32_e32 v6, vcc, 0, v10, vcc
	v_mul_f64 v[12:13], v[12:13], s[12:13]
	v_cmp_gt_i32_e32 vcc, 31, v14
	v_cndmask_b32_e32 v6, v2, v6, vcc
	v_cmp_ne_u32_e32 vcc, 0, v8
	v_cndmask_b32_e64 v8, 0, 1, vcc
	v_lshl_or_b32 v8, v8, 9, v2
	v_cmp_eq_u32_e32 vcc, s14, v14
	v_cndmask_b32_e32 v6, v6, v8, vcc
	v_lshrrev_b32_e32 v8, 16, v11
	v_and_or_b32 v6, v8, s15, v6
	v_and_or_b32 v8, v13, s11, v12
	v_cmp_ne_u32_e32 vcc, 0, v8
	v_cndmask_b32_e64 v8, 0, 1, vcc
	v_lshrrev_b32_e32 v10, 8, v13
	v_bfe_u32 v11, v13, 20, 11
	v_and_or_b32 v8, v10, s10, v8
	v_sub_u32_e32 v12, 0x3f1, v11
	v_or_b32_e32 v10, 0x1000, v8
	v_med3_i32 v12, v12, 0, 13
	v_lshrrev_b32_e32 v14, v12, v10
	v_lshlrev_b32_e32 v12, v12, v14
	v_cmp_ne_u32_e32 vcc, v12, v10
	v_cndmask_b32_e64 v10, 0, 1, vcc
	v_add_u32_e32 v12, 0xfffffc10, v11
	v_or_b32_e32 v10, v14, v10
	v_lshl_or_b32 v11, v12, 12, v8
	v_cmp_gt_i32_e32 vcc, 1, v12
	v_cndmask_b32_e32 v10, v11, v10, vcc
	v_and_b32_e32 v11, 7, v10
	v_cmp_lt_i32_e32 vcc, 5, v11
	v_cmp_eq_u32_e64 s[2:3], 3, v11
	v_lshrrev_b32_e32 v10, 2, v10
	s_or_b64 vcc, s[2:3], vcc
	v_addc_co_u32_e32 v10, vcc, 0, v10, vcc
	v_cmp_gt_i32_e32 vcc, 31, v12
	v_lshrrev_b32_e32 v16, 16, v9
	v_cndmask_b32_e32 v14, v2, v10, vcc
	v_mul_f16_sdwa v10, v77, v16 dst_sel:DWORD dst_unused:UNUSED_PAD src0_sel:WORD_1 src1_sel:DWORD
	v_fma_f16 v10, v77, v9, v10
	v_cvt_f32_f16_e32 v10, v10
	v_cmp_ne_u32_e32 vcc, 0, v8
	v_cndmask_b32_e64 v8, 0, 1, vcc
	v_lshl_or_b32 v8, v8, 9, v2
	v_cvt_f64_f32_e32 v[10:11], v10
	v_cmp_eq_u32_e32 vcc, s14, v12
	v_cndmask_b32_e32 v8, v14, v8, vcc
	v_lshrrev_b32_e32 v12, 16, v13
	v_mul_f64 v[10:11], v[10:11], s[12:13]
	v_and_or_b32 v8, v12, s15, v8
	v_and_b32_e32 v6, 0xffff, v6
	v_add_co_u32_e32 v4, vcc, s6, v4
	v_lshl_or_b32 v6, v8, 16, v6
	v_addc_co_u32_e32 v5, vcc, v5, v1, vcc
	global_store_dword v[4:5], v6, off
	v_and_or_b32 v6, v11, s11, v10
	v_cmp_ne_u32_e32 vcc, 0, v6
	v_cndmask_b32_e64 v6, 0, 1, vcc
	v_lshrrev_b32_e32 v8, 8, v11
	v_bfe_u32 v10, v11, 20, 11
	v_and_or_b32 v6, v8, s10, v6
	v_sub_u32_e32 v12, 0x3f1, v10
	v_or_b32_e32 v8, 0x1000, v6
	v_med3_i32 v12, v12, 0, 13
	v_lshrrev_b32_e32 v13, v12, v8
	v_lshlrev_b32_e32 v12, v12, v13
	v_mul_f16_sdwa v9, v77, v9 dst_sel:DWORD dst_unused:UNUSED_PAD src0_sel:WORD_1 src1_sel:DWORD
	v_cmp_ne_u32_e32 vcc, v12, v8
	v_fma_f16 v9, v77, v16, -v9
	v_cndmask_b32_e64 v8, 0, 1, vcc
	v_add_u32_e32 v10, 0xfffffc10, v10
	v_cvt_f32_f16_e32 v9, v9
	v_or_b32_e32 v8, v13, v8
	v_lshl_or_b32 v12, v10, 12, v6
	v_cmp_gt_i32_e32 vcc, 1, v10
	v_cndmask_b32_e32 v8, v12, v8, vcc
	v_and_b32_e32 v12, 7, v8
	v_cmp_lt_i32_e32 vcc, 5, v12
	v_cmp_eq_u32_e64 s[2:3], 3, v12
	v_lshrrev_b32_e32 v12, 2, v8
	v_cvt_f64_f32_e32 v[8:9], v9
	s_or_b64 vcc, s[2:3], vcc
	v_addc_co_u32_e32 v12, vcc, 0, v12, vcc
	v_mul_f64 v[8:9], v[8:9], s[12:13]
	v_cmp_gt_i32_e32 vcc, 31, v10
	v_cndmask_b32_e32 v12, v2, v12, vcc
	v_cmp_ne_u32_e32 vcc, 0, v6
	v_cndmask_b32_e64 v6, 0, 1, vcc
	v_lshl_or_b32 v6, v6, 9, v2
	v_cmp_eq_u32_e32 vcc, s14, v10
	v_cndmask_b32_e32 v6, v12, v6, vcc
	v_and_or_b32 v8, v9, s11, v8
	v_lshrrev_b32_e32 v10, 16, v11
	v_cmp_ne_u32_e32 vcc, 0, v8
	v_and_or_b32 v6, v10, s15, v6
	v_cndmask_b32_e64 v8, 0, 1, vcc
	v_lshrrev_b32_e32 v10, 8, v9
	v_bfe_u32 v11, v9, 20, 11
	v_and_or_b32 v8, v10, s10, v8
	v_sub_u32_e32 v12, 0x3f1, v11
	v_or_b32_e32 v10, 0x1000, v8
	v_med3_i32 v12, v12, 0, 13
	v_lshrrev_b32_e32 v13, v12, v10
	v_lshlrev_b32_e32 v12, v12, v13
	v_cmp_ne_u32_e32 vcc, v12, v10
	v_cndmask_b32_e64 v10, 0, 1, vcc
	v_add_u32_e32 v12, 0xfffffc10, v11
	v_or_b32_e32 v10, v13, v10
	v_lshl_or_b32 v11, v12, 12, v8
	v_cmp_gt_i32_e32 vcc, 1, v12
	v_cndmask_b32_e32 v10, v11, v10, vcc
	v_and_b32_e32 v11, 7, v10
	v_cmp_lt_i32_e32 vcc, 5, v11
	v_cmp_eq_u32_e64 s[2:3], 3, v11
	v_lshrrev_b32_e32 v10, 2, v10
	s_or_b64 vcc, s[2:3], vcc
	v_addc_co_u32_e32 v10, vcc, 0, v10, vcc
	v_cmp_gt_i32_e32 vcc, 31, v12
	v_lshrrev_b32_e32 v14, 16, v7
	v_cndmask_b32_e32 v13, v2, v10, vcc
	v_mul_f16_sdwa v10, v76, v14 dst_sel:DWORD dst_unused:UNUSED_PAD src0_sel:WORD_1 src1_sel:DWORD
	v_fma_f16 v10, v76, v7, v10
	v_cvt_f32_f16_e32 v10, v10
	v_cmp_ne_u32_e32 vcc, 0, v8
	v_cndmask_b32_e64 v8, 0, 1, vcc
	v_lshl_or_b32 v8, v8, 9, v2
	v_cvt_f64_f32_e32 v[10:11], v10
	v_cmp_eq_u32_e32 vcc, s14, v12
	v_cndmask_b32_e32 v8, v13, v8, vcc
	v_lshrrev_b32_e32 v9, 16, v9
	v_and_or_b32 v12, v9, s15, v8
	v_mul_f64 v[8:9], v[10:11], s[12:13]
	v_and_b32_e32 v6, 0xffff, v6
	v_add_co_u32_e32 v4, vcc, s4, v4
	v_lshl_or_b32 v6, v12, 16, v6
	v_addc_co_u32_e32 v5, vcc, v5, v0, vcc
	global_store_dword v[4:5], v6, off
	v_and_or_b32 v6, v9, s11, v8
	v_cmp_ne_u32_e32 vcc, 0, v6
	v_cndmask_b32_e64 v6, 0, 1, vcc
	v_lshrrev_b32_e32 v8, 8, v9
	v_bfe_u32 v10, v9, 20, 11
	v_and_or_b32 v8, v8, s10, v6
	v_sub_u32_e32 v11, 0x3f1, v10
	v_or_b32_e32 v6, 0x1000, v8
	v_med3_i32 v11, v11, 0, 13
	v_lshrrev_b32_e32 v12, v11, v6
	v_lshlrev_b32_e32 v11, v11, v12
	v_mul_f16_sdwa v7, v76, v7 dst_sel:DWORD dst_unused:UNUSED_PAD src0_sel:WORD_1 src1_sel:DWORD
	v_cmp_ne_u32_e32 vcc, v11, v6
	v_fma_f16 v7, v76, v14, -v7
	v_cndmask_b32_e64 v6, 0, 1, vcc
	v_add_u32_e32 v10, 0xfffffc10, v10
	v_cvt_f32_f16_e32 v7, v7
	v_or_b32_e32 v6, v12, v6
	v_lshl_or_b32 v11, v10, 12, v8
	v_cmp_gt_i32_e32 vcc, 1, v10
	v_cndmask_b32_e32 v6, v11, v6, vcc
	v_and_b32_e32 v11, 7, v6
	v_cmp_lt_i32_e32 vcc, 5, v11
	v_cmp_eq_u32_e64 s[2:3], 3, v11
	v_lshrrev_b32_e32 v11, 2, v6
	v_cvt_f64_f32_e32 v[6:7], v7
	s_or_b64 vcc, s[2:3], vcc
	v_addc_co_u32_e32 v11, vcc, 0, v11, vcc
	v_mul_f64 v[6:7], v[6:7], s[12:13]
	v_cmp_gt_i32_e32 vcc, 31, v10
	v_cndmask_b32_e32 v11, v2, v11, vcc
	v_cmp_ne_u32_e32 vcc, 0, v8
	v_cndmask_b32_e64 v8, 0, 1, vcc
	v_lshl_or_b32 v8, v8, 9, v2
	v_cmp_eq_u32_e32 vcc, s14, v10
	v_cndmask_b32_e32 v8, v11, v8, vcc
	v_and_or_b32 v6, v7, s11, v6
	v_lshrrev_b32_e32 v9, 16, v9
	v_cmp_ne_u32_e32 vcc, 0, v6
	v_and_or_b32 v12, v9, s15, v8
	v_cndmask_b32_e64 v6, 0, 1, vcc
	v_lshrrev_b32_e32 v8, 8, v7
	v_bfe_u32 v9, v7, 20, 11
	v_and_or_b32 v6, v8, s10, v6
	v_sub_u32_e32 v10, 0x3f1, v9
	v_or_b32_e32 v8, 0x1000, v6
	v_med3_i32 v10, v10, 0, 13
	v_lshrrev_b32_e32 v11, v10, v8
	v_lshlrev_b32_e32 v10, v10, v11
	v_cmp_ne_u32_e32 vcc, v10, v8
	v_cndmask_b32_e64 v8, 0, 1, vcc
	v_add_u32_e32 v13, 0xfffffc10, v9
	v_or_b32_e32 v8, v11, v8
	v_lshl_or_b32 v9, v13, 12, v6
	v_cmp_gt_i32_e32 vcc, 1, v13
	v_cndmask_b32_e32 v8, v9, v8, vcc
	v_and_b32_e32 v9, 7, v8
	v_cmp_lt_i32_e32 vcc, 5, v9
	v_cmp_eq_u32_e64 s[2:3], 3, v9
	v_lshrrev_b32_e32 v10, 2, v8
	ds_read2_b32 v[8:9], v63 offset0:176 offset1:220
	s_or_b64 vcc, s[2:3], vcc
	v_addc_co_u32_e32 v10, vcc, 0, v10, vcc
	v_cmp_gt_i32_e32 vcc, 31, v13
	s_waitcnt lgkmcnt(0)
	v_lshrrev_b32_e32 v16, 16, v8
	v_cndmask_b32_e32 v14, v2, v10, vcc
	v_mul_f16_sdwa v10, v75, v16 dst_sel:DWORD dst_unused:UNUSED_PAD src0_sel:WORD_1 src1_sel:DWORD
	v_fma_f16 v10, v75, v8, v10
	v_cvt_f32_f16_e32 v10, v10
	v_cmp_ne_u32_e32 vcc, 0, v6
	v_cndmask_b32_e64 v6, 0, 1, vcc
	v_lshl_or_b32 v6, v6, 9, v2
	v_cvt_f64_f32_e32 v[10:11], v10
	v_cmp_eq_u32_e32 vcc, s14, v13
	v_cndmask_b32_e32 v6, v14, v6, vcc
	v_lshrrev_b32_e32 v7, 16, v7
	v_and_or_b32 v13, v7, s15, v6
	v_mul_f64 v[6:7], v[10:11], s[12:13]
	v_add_co_u32_e32 v4, vcc, s6, v4
	v_and_b32_e32 v10, 0xffff, v12
	v_addc_co_u32_e32 v5, vcc, v5, v1, vcc
	v_lshl_or_b32 v10, v13, 16, v10
	global_store_dword v[4:5], v10, off
	v_and_or_b32 v6, v7, s11, v6
	v_cmp_ne_u32_e32 vcc, 0, v6
	v_cndmask_b32_e64 v6, 0, 1, vcc
	v_lshrrev_b32_e32 v10, 8, v7
	v_bfe_u32 v11, v7, 20, 11
	v_and_or_b32 v6, v10, s10, v6
	v_sub_u32_e32 v12, 0x3f1, v11
	v_or_b32_e32 v10, 0x1000, v6
	v_med3_i32 v12, v12, 0, 13
	v_lshrrev_b32_e32 v13, v12, v10
	v_lshlrev_b32_e32 v12, v12, v13
	v_mul_f16_sdwa v8, v75, v8 dst_sel:DWORD dst_unused:UNUSED_PAD src0_sel:WORD_1 src1_sel:DWORD
	v_cmp_ne_u32_e32 vcc, v12, v10
	v_fma_f16 v8, v75, v16, -v8
	v_cndmask_b32_e64 v10, 0, 1, vcc
	v_add_u32_e32 v12, 0xfffffc10, v11
	v_cvt_f32_f16_e32 v8, v8
	v_or_b32_e32 v10, v13, v10
	v_lshl_or_b32 v11, v12, 12, v6
	v_cmp_gt_i32_e32 vcc, 1, v12
	v_cndmask_b32_e32 v10, v11, v10, vcc
	v_and_b32_e32 v11, 7, v10
	v_cmp_lt_i32_e32 vcc, 5, v11
	v_cmp_eq_u32_e64 s[2:3], 3, v11
	v_lshrrev_b32_e32 v13, 2, v10
	v_cvt_f64_f32_e32 v[10:11], v8
	s_or_b64 vcc, s[2:3], vcc
	v_addc_co_u32_e32 v8, vcc, 0, v13, vcc
	v_mul_f64 v[10:11], v[10:11], s[12:13]
	v_cmp_gt_i32_e32 vcc, 31, v12
	v_cndmask_b32_e32 v8, v2, v8, vcc
	v_cmp_ne_u32_e32 vcc, 0, v6
	v_cndmask_b32_e64 v6, 0, 1, vcc
	v_lshl_or_b32 v6, v6, 9, v2
	v_cmp_eq_u32_e32 vcc, s14, v12
	v_cndmask_b32_e32 v6, v8, v6, vcc
	v_lshrrev_b32_e32 v7, 16, v7
	v_and_or_b32 v8, v7, s15, v6
	v_and_or_b32 v6, v11, s11, v10
	v_cmp_ne_u32_e32 vcc, 0, v6
	v_cndmask_b32_e64 v6, 0, 1, vcc
	v_lshrrev_b32_e32 v7, 8, v11
	v_and_or_b32 v10, v7, s10, v6
	v_bfe_u32 v7, v11, 20, 11
	v_sub_u32_e32 v12, 0x3f1, v7
	v_or_b32_e32 v6, 0x1000, v10
	v_med3_i32 v12, v12, 0, 13
	v_lshrrev_b32_e32 v13, v12, v6
	v_lshlrev_b32_e32 v12, v12, v13
	v_cmp_ne_u32_e32 vcc, v12, v6
	v_cndmask_b32_e64 v6, 0, 1, vcc
	v_add_u32_e32 v14, 0xfffffc10, v7
	v_or_b32_e32 v6, v13, v6
	v_lshl_or_b32 v7, v14, 12, v10
	v_cmp_gt_i32_e32 vcc, 1, v14
	v_cndmask_b32_e32 v6, v7, v6, vcc
	v_and_b32_e32 v7, 7, v6
	v_cmp_lt_i32_e32 vcc, 5, v7
	v_cmp_eq_u32_e64 s[2:3], 3, v7
	v_lshrrev_b32_e32 v12, 2, v6
	ds_read2_b32 v[6:7], v15 offset0:126 offset1:170
	s_or_b64 vcc, s[2:3], vcc
	v_addc_co_u32_e32 v12, vcc, 0, v12, vcc
	v_cmp_gt_i32_e32 vcc, 31, v14
	s_waitcnt lgkmcnt(0)
	v_lshrrev_b32_e32 v16, 16, v6
	v_cndmask_b32_e32 v15, v2, v12, vcc
	v_mul_f16_sdwa v12, v74, v16 dst_sel:DWORD dst_unused:UNUSED_PAD src0_sel:WORD_1 src1_sel:DWORD
	v_fma_f16 v12, v74, v6, v12
	v_cvt_f32_f16_e32 v12, v12
	v_cmp_ne_u32_e32 vcc, 0, v10
	v_cndmask_b32_e64 v10, 0, 1, vcc
	v_lshl_or_b32 v10, v10, 9, v2
	v_cvt_f64_f32_e32 v[12:13], v12
	v_cmp_eq_u32_e32 vcc, s14, v14
	v_cndmask_b32_e32 v10, v15, v10, vcc
	v_lshrrev_b32_e32 v11, 16, v11
	v_and_or_b32 v14, v11, s15, v10
	v_mul_f64 v[10:11], v[12:13], s[12:13]
	v_and_b32_e32 v8, 0xffff, v8
	v_add_co_u32_e32 v4, vcc, s4, v4
	v_lshl_or_b32 v8, v14, 16, v8
	v_addc_co_u32_e32 v5, vcc, v5, v0, vcc
	global_store_dword v[4:5], v8, off
	v_and_or_b32 v8, v11, s11, v10
	v_cmp_ne_u32_e32 vcc, 0, v8
	v_cndmask_b32_e64 v8, 0, 1, vcc
	v_lshrrev_b32_e32 v10, 8, v11
	v_bfe_u32 v12, v11, 20, 11
	v_and_or_b32 v8, v10, s10, v8
	v_sub_u32_e32 v13, 0x3f1, v12
	v_or_b32_e32 v10, 0x1000, v8
	v_med3_i32 v13, v13, 0, 13
	v_lshrrev_b32_e32 v14, v13, v10
	v_lshlrev_b32_e32 v13, v13, v14
	v_cmp_ne_u32_e32 vcc, v13, v10
	v_mul_f16_sdwa v6, v74, v6 dst_sel:DWORD dst_unused:UNUSED_PAD src0_sel:WORD_1 src1_sel:DWORD
	v_cndmask_b32_e64 v10, 0, 1, vcc
	v_fma_f16 v6, v74, v16, -v6
	v_or_b32_e32 v10, v14, v10
	v_add_u32_e32 v14, 0xfffffc10, v12
	v_cvt_f32_f16_e32 v6, v6
	v_lshl_or_b32 v12, v14, 12, v8
	v_cmp_gt_i32_e32 vcc, 1, v14
	v_cndmask_b32_e32 v10, v12, v10, vcc
	v_and_b32_e32 v12, 7, v10
	v_cmp_lt_i32_e32 vcc, 5, v12
	v_cmp_eq_u32_e64 s[2:3], 3, v12
	v_cvt_f64_f32_e32 v[12:13], v6
	v_lshrrev_b32_e32 v10, 2, v10
	s_or_b64 vcc, s[2:3], vcc
	v_addc_co_u32_e32 v6, vcc, 0, v10, vcc
	v_mul_f64 v[12:13], v[12:13], s[12:13]
	v_cmp_gt_i32_e32 vcc, 31, v14
	v_cndmask_b32_e32 v6, v2, v6, vcc
	v_cmp_ne_u32_e32 vcc, 0, v8
	v_cndmask_b32_e64 v8, 0, 1, vcc
	v_lshl_or_b32 v8, v8, 9, v2
	v_cmp_eq_u32_e32 vcc, s14, v14
	v_cndmask_b32_e32 v6, v6, v8, vcc
	v_lshrrev_b32_e32 v8, 16, v11
	v_and_or_b32 v6, v8, s15, v6
	v_and_or_b32 v8, v13, s11, v12
	v_cmp_ne_u32_e32 vcc, 0, v8
	v_cndmask_b32_e64 v8, 0, 1, vcc
	v_lshrrev_b32_e32 v10, 8, v13
	v_bfe_u32 v11, v13, 20, 11
	v_and_or_b32 v8, v10, s10, v8
	v_sub_u32_e32 v12, 0x3f1, v11
	v_or_b32_e32 v10, 0x1000, v8
	v_med3_i32 v12, v12, 0, 13
	v_lshrrev_b32_e32 v14, v12, v10
	v_lshlrev_b32_e32 v12, v12, v14
	v_cmp_ne_u32_e32 vcc, v12, v10
	v_cndmask_b32_e64 v10, 0, 1, vcc
	v_add_u32_e32 v12, 0xfffffc10, v11
	v_or_b32_e32 v10, v14, v10
	v_lshl_or_b32 v11, v12, 12, v8
	v_cmp_gt_i32_e32 vcc, 1, v12
	v_cndmask_b32_e32 v10, v11, v10, vcc
	v_and_b32_e32 v11, 7, v10
	v_cmp_lt_i32_e32 vcc, 5, v11
	v_cmp_eq_u32_e64 s[2:3], 3, v11
	v_lshrrev_b32_e32 v10, 2, v10
	s_or_b64 vcc, s[2:3], vcc
	v_addc_co_u32_e32 v10, vcc, 0, v10, vcc
	v_cmp_gt_i32_e32 vcc, 31, v12
	v_lshrrev_b32_e32 v15, 16, v9
	v_cndmask_b32_e32 v14, v2, v10, vcc
	v_mul_f16_sdwa v10, v73, v15 dst_sel:DWORD dst_unused:UNUSED_PAD src0_sel:WORD_1 src1_sel:DWORD
	v_fma_f16 v10, v73, v9, v10
	v_cvt_f32_f16_e32 v10, v10
	v_cmp_ne_u32_e32 vcc, 0, v8
	v_cndmask_b32_e64 v8, 0, 1, vcc
	v_lshl_or_b32 v8, v8, 9, v2
	v_cvt_f64_f32_e32 v[10:11], v10
	v_cmp_eq_u32_e32 vcc, s14, v12
	v_cndmask_b32_e32 v8, v14, v8, vcc
	v_lshrrev_b32_e32 v12, 16, v13
	v_mul_f64 v[10:11], v[10:11], s[12:13]
	v_and_or_b32 v8, v12, s15, v8
	v_and_b32_e32 v6, 0xffff, v6
	v_add_co_u32_e32 v4, vcc, s6, v4
	v_lshl_or_b32 v6, v8, 16, v6
	v_addc_co_u32_e32 v5, vcc, v5, v1, vcc
	global_store_dword v[4:5], v6, off
	v_and_or_b32 v6, v11, s11, v10
	v_cmp_ne_u32_e32 vcc, 0, v6
	v_cndmask_b32_e64 v6, 0, 1, vcc
	v_lshrrev_b32_e32 v8, 8, v11
	v_bfe_u32 v10, v11, 20, 11
	v_and_or_b32 v6, v8, s10, v6
	v_sub_u32_e32 v12, 0x3f1, v10
	v_or_b32_e32 v8, 0x1000, v6
	v_med3_i32 v12, v12, 0, 13
	v_lshrrev_b32_e32 v13, v12, v8
	v_lshlrev_b32_e32 v12, v12, v13
	v_mul_f16_sdwa v9, v73, v9 dst_sel:DWORD dst_unused:UNUSED_PAD src0_sel:WORD_1 src1_sel:DWORD
	v_cmp_ne_u32_e32 vcc, v12, v8
	v_fma_f16 v9, v73, v15, -v9
	v_cndmask_b32_e64 v8, 0, 1, vcc
	v_add_u32_e32 v10, 0xfffffc10, v10
	v_cvt_f32_f16_e32 v9, v9
	v_or_b32_e32 v8, v13, v8
	v_lshl_or_b32 v12, v10, 12, v6
	v_cmp_gt_i32_e32 vcc, 1, v10
	v_cndmask_b32_e32 v8, v12, v8, vcc
	v_and_b32_e32 v12, 7, v8
	v_cmp_lt_i32_e32 vcc, 5, v12
	v_cmp_eq_u32_e64 s[2:3], 3, v12
	v_lshrrev_b32_e32 v12, 2, v8
	v_cvt_f64_f32_e32 v[8:9], v9
	s_or_b64 vcc, s[2:3], vcc
	v_addc_co_u32_e32 v12, vcc, 0, v12, vcc
	v_mul_f64 v[8:9], v[8:9], s[12:13]
	v_cmp_gt_i32_e32 vcc, 31, v10
	v_cndmask_b32_e32 v12, v2, v12, vcc
	v_cmp_ne_u32_e32 vcc, 0, v6
	v_cndmask_b32_e64 v6, 0, 1, vcc
	v_lshl_or_b32 v6, v6, 9, v2
	v_cmp_eq_u32_e32 vcc, s14, v10
	v_cndmask_b32_e32 v6, v12, v6, vcc
	v_and_or_b32 v8, v9, s11, v8
	v_lshrrev_b32_e32 v10, 16, v11
	v_cmp_ne_u32_e32 vcc, 0, v8
	v_and_or_b32 v6, v10, s15, v6
	v_cndmask_b32_e64 v8, 0, 1, vcc
	v_lshrrev_b32_e32 v10, 8, v9
	v_bfe_u32 v11, v9, 20, 11
	v_and_or_b32 v8, v10, s10, v8
	v_sub_u32_e32 v12, 0x3f1, v11
	v_or_b32_e32 v10, 0x1000, v8
	v_med3_i32 v12, v12, 0, 13
	v_lshrrev_b32_e32 v13, v12, v10
	v_lshlrev_b32_e32 v12, v12, v13
	v_cmp_ne_u32_e32 vcc, v12, v10
	v_cndmask_b32_e64 v10, 0, 1, vcc
	v_add_u32_e32 v12, 0xfffffc10, v11
	v_or_b32_e32 v10, v13, v10
	v_lshl_or_b32 v11, v12, 12, v8
	v_cmp_gt_i32_e32 vcc, 1, v12
	v_cndmask_b32_e32 v10, v11, v10, vcc
	v_and_b32_e32 v11, 7, v10
	v_cmp_lt_i32_e32 vcc, 5, v11
	v_cmp_eq_u32_e64 s[2:3], 3, v11
	v_lshrrev_b32_e32 v10, 2, v10
	s_or_b64 vcc, s[2:3], vcc
	v_addc_co_u32_e32 v10, vcc, 0, v10, vcc
	v_cmp_gt_i32_e32 vcc, 31, v12
	v_lshrrev_b32_e32 v14, 16, v7
	v_cndmask_b32_e32 v13, v2, v10, vcc
	v_mul_f16_sdwa v10, v72, v14 dst_sel:DWORD dst_unused:UNUSED_PAD src0_sel:WORD_1 src1_sel:DWORD
	v_fma_f16 v10, v72, v7, v10
	v_cvt_f32_f16_e32 v10, v10
	v_cmp_ne_u32_e32 vcc, 0, v8
	v_cndmask_b32_e64 v8, 0, 1, vcc
	v_lshl_or_b32 v8, v8, 9, v2
	v_cvt_f64_f32_e32 v[10:11], v10
	v_cmp_eq_u32_e32 vcc, s14, v12
	v_cndmask_b32_e32 v8, v13, v8, vcc
	v_lshrrev_b32_e32 v9, 16, v9
	v_and_or_b32 v12, v9, s15, v8
	v_mul_f64 v[8:9], v[10:11], s[12:13]
	v_and_b32_e32 v6, 0xffff, v6
	v_add_co_u32_e32 v4, vcc, s4, v4
	v_lshl_or_b32 v6, v12, 16, v6
	v_addc_co_u32_e32 v5, vcc, v5, v0, vcc
	global_store_dword v[4:5], v6, off
	v_and_or_b32 v6, v9, s11, v8
	v_cmp_ne_u32_e32 vcc, 0, v6
	v_cndmask_b32_e64 v6, 0, 1, vcc
	v_lshrrev_b32_e32 v8, 8, v9
	v_bfe_u32 v10, v9, 20, 11
	v_and_or_b32 v8, v8, s10, v6
	v_sub_u32_e32 v11, 0x3f1, v10
	v_or_b32_e32 v6, 0x1000, v8
	v_med3_i32 v11, v11, 0, 13
	v_lshrrev_b32_e32 v12, v11, v6
	v_lshlrev_b32_e32 v11, v11, v12
	v_mul_f16_sdwa v7, v72, v7 dst_sel:DWORD dst_unused:UNUSED_PAD src0_sel:WORD_1 src1_sel:DWORD
	v_cmp_ne_u32_e32 vcc, v11, v6
	v_fma_f16 v7, v72, v14, -v7
	v_cndmask_b32_e64 v6, 0, 1, vcc
	v_add_u32_e32 v10, 0xfffffc10, v10
	v_cvt_f32_f16_e32 v7, v7
	v_or_b32_e32 v6, v12, v6
	v_lshl_or_b32 v11, v10, 12, v8
	v_cmp_gt_i32_e32 vcc, 1, v10
	v_cndmask_b32_e32 v6, v11, v6, vcc
	v_and_b32_e32 v11, 7, v6
	v_cmp_lt_i32_e32 vcc, 5, v11
	v_cmp_eq_u32_e64 s[2:3], 3, v11
	v_lshrrev_b32_e32 v11, 2, v6
	v_cvt_f64_f32_e32 v[6:7], v7
	s_or_b64 vcc, s[2:3], vcc
	v_addc_co_u32_e32 v11, vcc, 0, v11, vcc
	v_mul_f64 v[6:7], v[6:7], s[12:13]
	v_cmp_gt_i32_e32 vcc, 31, v10
	v_cndmask_b32_e32 v11, v2, v11, vcc
	v_cmp_ne_u32_e32 vcc, 0, v8
	v_cndmask_b32_e64 v8, 0, 1, vcc
	v_lshl_or_b32 v8, v8, 9, v2
	v_cmp_eq_u32_e32 vcc, s14, v10
	v_cndmask_b32_e32 v8, v11, v8, vcc
	v_and_or_b32 v6, v7, s11, v6
	v_lshrrev_b32_e32 v9, 16, v9
	v_cmp_ne_u32_e32 vcc, 0, v6
	v_and_or_b32 v12, v9, s15, v8
	v_cndmask_b32_e64 v6, 0, 1, vcc
	v_lshrrev_b32_e32 v8, 8, v7
	v_bfe_u32 v9, v7, 20, 11
	v_and_or_b32 v6, v8, s10, v6
	v_sub_u32_e32 v10, 0x3f1, v9
	v_or_b32_e32 v8, 0x1000, v6
	v_med3_i32 v10, v10, 0, 13
	v_lshrrev_b32_e32 v11, v10, v8
	v_lshlrev_b32_e32 v10, v10, v11
	v_cmp_ne_u32_e32 vcc, v10, v8
	v_cndmask_b32_e64 v8, 0, 1, vcc
	v_add_u32_e32 v13, 0xfffffc10, v9
	v_or_b32_e32 v8, v11, v8
	v_lshl_or_b32 v9, v13, 12, v6
	v_cmp_gt_i32_e32 vcc, 1, v13
	v_cndmask_b32_e32 v8, v9, v8, vcc
	v_and_b32_e32 v9, 7, v8
	v_cmp_lt_i32_e32 vcc, 5, v9
	v_cmp_eq_u32_e64 s[2:3], 3, v9
	v_lshrrev_b32_e32 v10, 2, v8
	ds_read2_b32 v[8:9], v3 offset0:8 offset1:52
	s_or_b64 vcc, s[2:3], vcc
	v_addc_co_u32_e32 v10, vcc, 0, v10, vcc
	v_cmp_gt_i32_e32 vcc, 31, v13
	s_waitcnt lgkmcnt(0)
	v_lshrrev_b32_e32 v15, 16, v8
	v_cndmask_b32_e32 v14, v2, v10, vcc
	v_mul_f16_sdwa v10, v70, v15 dst_sel:DWORD dst_unused:UNUSED_PAD src0_sel:WORD_1 src1_sel:DWORD
	v_fma_f16 v10, v70, v8, v10
	v_cvt_f32_f16_e32 v10, v10
	v_cmp_ne_u32_e32 vcc, 0, v6
	v_cndmask_b32_e64 v6, 0, 1, vcc
	v_lshl_or_b32 v6, v6, 9, v2
	v_cvt_f64_f32_e32 v[10:11], v10
	v_cmp_eq_u32_e32 vcc, s14, v13
	v_cndmask_b32_e32 v6, v14, v6, vcc
	v_lshrrev_b32_e32 v7, 16, v7
	v_and_or_b32 v13, v7, s15, v6
	v_mul_f64 v[6:7], v[10:11], s[12:13]
	v_add_co_u32_e32 v4, vcc, s6, v4
	v_and_b32_e32 v10, 0xffff, v12
	v_addc_co_u32_e32 v5, vcc, v5, v1, vcc
	v_lshl_or_b32 v10, v13, 16, v10
	global_store_dword v[4:5], v10, off
	v_and_or_b32 v6, v7, s11, v6
	v_cmp_ne_u32_e32 vcc, 0, v6
	v_cndmask_b32_e64 v6, 0, 1, vcc
	v_lshrrev_b32_e32 v10, 8, v7
	v_bfe_u32 v11, v7, 20, 11
	v_and_or_b32 v6, v10, s10, v6
	v_sub_u32_e32 v12, 0x3f1, v11
	v_or_b32_e32 v10, 0x1000, v6
	v_med3_i32 v12, v12, 0, 13
	v_lshrrev_b32_e32 v13, v12, v10
	v_lshlrev_b32_e32 v12, v12, v13
	v_mul_f16_sdwa v8, v70, v8 dst_sel:DWORD dst_unused:UNUSED_PAD src0_sel:WORD_1 src1_sel:DWORD
	v_cmp_ne_u32_e32 vcc, v12, v10
	v_fma_f16 v8, v70, v15, -v8
	v_cndmask_b32_e64 v10, 0, 1, vcc
	v_add_u32_e32 v12, 0xfffffc10, v11
	v_cvt_f32_f16_e32 v8, v8
	v_or_b32_e32 v10, v13, v10
	v_lshl_or_b32 v11, v12, 12, v6
	v_cmp_gt_i32_e32 vcc, 1, v12
	v_cndmask_b32_e32 v10, v11, v10, vcc
	v_and_b32_e32 v11, 7, v10
	v_cmp_lt_i32_e32 vcc, 5, v11
	v_cmp_eq_u32_e64 s[2:3], 3, v11
	v_lshrrev_b32_e32 v13, 2, v10
	v_cvt_f64_f32_e32 v[10:11], v8
	s_or_b64 vcc, s[2:3], vcc
	v_addc_co_u32_e32 v8, vcc, 0, v13, vcc
	v_mul_f64 v[10:11], v[10:11], s[12:13]
	v_cmp_gt_i32_e32 vcc, 31, v12
	v_cndmask_b32_e32 v8, v2, v8, vcc
	v_cmp_ne_u32_e32 vcc, 0, v6
	v_cndmask_b32_e64 v6, 0, 1, vcc
	v_lshl_or_b32 v6, v6, 9, v2
	v_cmp_eq_u32_e32 vcc, s14, v12
	v_cndmask_b32_e32 v6, v8, v6, vcc
	v_lshrrev_b32_e32 v7, 16, v7
	v_and_or_b32 v8, v7, s15, v6
	v_and_or_b32 v6, v11, s11, v10
	v_cmp_ne_u32_e32 vcc, 0, v6
	v_cndmask_b32_e64 v6, 0, 1, vcc
	v_lshrrev_b32_e32 v7, 8, v11
	v_and_or_b32 v10, v7, s10, v6
	v_bfe_u32 v7, v11, 20, 11
	v_sub_u32_e32 v12, 0x3f1, v7
	v_or_b32_e32 v6, 0x1000, v10
	v_med3_i32 v12, v12, 0, 13
	v_lshrrev_b32_e32 v13, v12, v6
	v_lshlrev_b32_e32 v12, v12, v13
	v_cmp_ne_u32_e32 vcc, v12, v6
	v_cndmask_b32_e64 v6, 0, 1, vcc
	v_add_u32_e32 v14, 0xfffffc10, v7
	v_or_b32_e32 v6, v13, v6
	v_lshl_or_b32 v7, v14, 12, v10
	v_cmp_gt_i32_e32 vcc, 1, v14
	v_cndmask_b32_e32 v6, v7, v6, vcc
	v_and_b32_e32 v7, 7, v6
	v_lshrrev_b32_e32 v12, 2, v6
	v_add_u32_e32 v6, 0xa00, v63
	v_cmp_lt_i32_e32 vcc, 5, v7
	v_cmp_eq_u32_e64 s[2:3], 3, v7
	ds_read2_b32 v[6:7], v6 offset0:86 offset1:130
	s_or_b64 vcc, s[2:3], vcc
	v_addc_co_u32_e32 v12, vcc, 0, v12, vcc
	v_cmp_gt_i32_e32 vcc, 31, v14
	s_waitcnt lgkmcnt(0)
	v_lshrrev_b32_e32 v16, 16, v6
	v_cndmask_b32_e32 v15, v2, v12, vcc
	v_mul_f16_sdwa v12, v71, v16 dst_sel:DWORD dst_unused:UNUSED_PAD src0_sel:WORD_1 src1_sel:DWORD
	v_fma_f16 v12, v71, v6, v12
	v_cvt_f32_f16_e32 v12, v12
	v_cmp_ne_u32_e32 vcc, 0, v10
	v_cndmask_b32_e64 v10, 0, 1, vcc
	v_lshl_or_b32 v10, v10, 9, v2
	v_cvt_f64_f32_e32 v[12:13], v12
	v_cmp_eq_u32_e32 vcc, s14, v14
	v_cndmask_b32_e32 v10, v15, v10, vcc
	v_lshrrev_b32_e32 v11, 16, v11
	v_and_or_b32 v14, v11, s15, v10
	v_mul_f64 v[10:11], v[12:13], s[12:13]
	v_and_b32_e32 v8, 0xffff, v8
	v_add_co_u32_e32 v4, vcc, s4, v4
	v_lshl_or_b32 v8, v14, 16, v8
	v_addc_co_u32_e32 v5, vcc, v5, v0, vcc
	global_store_dword v[4:5], v8, off
	v_and_or_b32 v8, v11, s11, v10
	v_cmp_ne_u32_e32 vcc, 0, v8
	v_cndmask_b32_e64 v8, 0, 1, vcc
	v_lshrrev_b32_e32 v10, 8, v11
	v_bfe_u32 v12, v11, 20, 11
	v_and_or_b32 v8, v10, s10, v8
	v_sub_u32_e32 v13, 0x3f1, v12
	v_or_b32_e32 v10, 0x1000, v8
	v_med3_i32 v13, v13, 0, 13
	v_lshrrev_b32_e32 v14, v13, v10
	v_lshlrev_b32_e32 v13, v13, v14
	v_cmp_ne_u32_e32 vcc, v13, v10
	v_mul_f16_sdwa v6, v71, v6 dst_sel:DWORD dst_unused:UNUSED_PAD src0_sel:WORD_1 src1_sel:DWORD
	v_cndmask_b32_e64 v10, 0, 1, vcc
	v_fma_f16 v6, v71, v16, -v6
	v_or_b32_e32 v10, v14, v10
	v_add_u32_e32 v14, 0xfffffc10, v12
	v_cvt_f32_f16_e32 v6, v6
	v_lshl_or_b32 v12, v14, 12, v8
	v_cmp_gt_i32_e32 vcc, 1, v14
	v_cndmask_b32_e32 v10, v12, v10, vcc
	v_and_b32_e32 v12, 7, v10
	v_cmp_lt_i32_e32 vcc, 5, v12
	v_cmp_eq_u32_e64 s[2:3], 3, v12
	v_cvt_f64_f32_e32 v[12:13], v6
	v_lshrrev_b32_e32 v10, 2, v10
	s_or_b64 vcc, s[2:3], vcc
	v_addc_co_u32_e32 v6, vcc, 0, v10, vcc
	v_mul_f64 v[12:13], v[12:13], s[12:13]
	v_cmp_gt_i32_e32 vcc, 31, v14
	v_cndmask_b32_e32 v6, v2, v6, vcc
	v_cmp_ne_u32_e32 vcc, 0, v8
	v_cndmask_b32_e64 v8, 0, 1, vcc
	v_lshl_or_b32 v8, v8, 9, v2
	v_cmp_eq_u32_e32 vcc, s14, v14
	v_cndmask_b32_e32 v6, v6, v8, vcc
	v_lshrrev_b32_e32 v8, 16, v11
	v_and_or_b32 v6, v8, s15, v6
	v_and_or_b32 v8, v13, s11, v12
	v_cmp_ne_u32_e32 vcc, 0, v8
	v_cndmask_b32_e64 v8, 0, 1, vcc
	v_lshrrev_b32_e32 v10, 8, v13
	v_bfe_u32 v11, v13, 20, 11
	v_and_or_b32 v8, v10, s10, v8
	v_sub_u32_e32 v12, 0x3f1, v11
	v_or_b32_e32 v10, 0x1000, v8
	v_med3_i32 v12, v12, 0, 13
	v_lshrrev_b32_e32 v14, v12, v10
	v_lshlrev_b32_e32 v12, v12, v14
	v_cmp_ne_u32_e32 vcc, v12, v10
	v_cndmask_b32_e64 v10, 0, 1, vcc
	v_add_u32_e32 v12, 0xfffffc10, v11
	v_or_b32_e32 v10, v14, v10
	v_lshl_or_b32 v11, v12, 12, v8
	v_cmp_gt_i32_e32 vcc, 1, v12
	v_cndmask_b32_e32 v10, v11, v10, vcc
	v_and_b32_e32 v11, 7, v10
	v_cmp_lt_i32_e32 vcc, 5, v11
	v_cmp_eq_u32_e64 s[2:3], 3, v11
	v_lshrrev_b32_e32 v10, 2, v10
	s_or_b64 vcc, s[2:3], vcc
	v_addc_co_u32_e32 v10, vcc, 0, v10, vcc
	v_cmp_gt_i32_e32 vcc, 31, v12
	v_lshrrev_b32_e32 v15, 16, v9
	v_cndmask_b32_e32 v14, v2, v10, vcc
	v_mul_f16_sdwa v10, v68, v15 dst_sel:DWORD dst_unused:UNUSED_PAD src0_sel:WORD_1 src1_sel:DWORD
	v_fma_f16 v10, v68, v9, v10
	v_cvt_f32_f16_e32 v10, v10
	v_cmp_ne_u32_e32 vcc, 0, v8
	v_cndmask_b32_e64 v8, 0, 1, vcc
	v_lshl_or_b32 v8, v8, 9, v2
	v_cvt_f64_f32_e32 v[10:11], v10
	v_cmp_eq_u32_e32 vcc, s14, v12
	v_cndmask_b32_e32 v8, v14, v8, vcc
	v_lshrrev_b32_e32 v12, 16, v13
	v_mul_f64 v[10:11], v[10:11], s[12:13]
	v_and_or_b32 v8, v12, s15, v8
	v_and_b32_e32 v6, 0xffff, v6
	v_add_co_u32_e32 v4, vcc, s6, v4
	v_lshl_or_b32 v6, v8, 16, v6
	v_addc_co_u32_e32 v5, vcc, v5, v1, vcc
	global_store_dword v[4:5], v6, off
	v_and_or_b32 v6, v11, s11, v10
	v_cmp_ne_u32_e32 vcc, 0, v6
	v_cndmask_b32_e64 v6, 0, 1, vcc
	v_lshrrev_b32_e32 v8, 8, v11
	v_bfe_u32 v10, v11, 20, 11
	v_and_or_b32 v6, v8, s10, v6
	v_sub_u32_e32 v12, 0x3f1, v10
	v_or_b32_e32 v8, 0x1000, v6
	v_med3_i32 v12, v12, 0, 13
	v_lshrrev_b32_e32 v13, v12, v8
	v_lshlrev_b32_e32 v12, v12, v13
	v_mul_f16_sdwa v9, v68, v9 dst_sel:DWORD dst_unused:UNUSED_PAD src0_sel:WORD_1 src1_sel:DWORD
	v_cmp_ne_u32_e32 vcc, v12, v8
	v_fma_f16 v9, v68, v15, -v9
	v_cndmask_b32_e64 v8, 0, 1, vcc
	v_add_u32_e32 v10, 0xfffffc10, v10
	v_cvt_f32_f16_e32 v9, v9
	v_or_b32_e32 v8, v13, v8
	v_lshl_or_b32 v12, v10, 12, v6
	v_cmp_gt_i32_e32 vcc, 1, v10
	v_cndmask_b32_e32 v8, v12, v8, vcc
	v_and_b32_e32 v12, 7, v8
	v_cmp_lt_i32_e32 vcc, 5, v12
	v_cmp_eq_u32_e64 s[2:3], 3, v12
	v_lshrrev_b32_e32 v12, 2, v8
	v_cvt_f64_f32_e32 v[8:9], v9
	s_or_b64 vcc, s[2:3], vcc
	v_addc_co_u32_e32 v12, vcc, 0, v12, vcc
	v_mul_f64 v[8:9], v[8:9], s[12:13]
	v_cmp_gt_i32_e32 vcc, 31, v10
	v_cndmask_b32_e32 v12, v2, v12, vcc
	v_cmp_ne_u32_e32 vcc, 0, v6
	v_cndmask_b32_e64 v6, 0, 1, vcc
	v_lshl_or_b32 v6, v6, 9, v2
	v_cmp_eq_u32_e32 vcc, s14, v10
	v_cndmask_b32_e32 v6, v12, v6, vcc
	v_and_or_b32 v8, v9, s11, v8
	v_lshrrev_b32_e32 v10, 16, v11
	v_cmp_ne_u32_e32 vcc, 0, v8
	v_and_or_b32 v6, v10, s15, v6
	v_cndmask_b32_e64 v8, 0, 1, vcc
	v_lshrrev_b32_e32 v10, 8, v9
	v_bfe_u32 v11, v9, 20, 11
	v_and_or_b32 v8, v10, s10, v8
	v_sub_u32_e32 v12, 0x3f1, v11
	v_or_b32_e32 v10, 0x1000, v8
	v_med3_i32 v12, v12, 0, 13
	v_lshrrev_b32_e32 v13, v12, v10
	v_lshlrev_b32_e32 v12, v12, v13
	v_cmp_ne_u32_e32 vcc, v12, v10
	v_cndmask_b32_e64 v10, 0, 1, vcc
	v_add_u32_e32 v12, 0xfffffc10, v11
	v_or_b32_e32 v10, v13, v10
	v_lshl_or_b32 v11, v12, 12, v8
	v_cmp_gt_i32_e32 vcc, 1, v12
	v_cndmask_b32_e32 v10, v11, v10, vcc
	v_and_b32_e32 v11, 7, v10
	v_cmp_lt_i32_e32 vcc, 5, v11
	v_cmp_eq_u32_e64 s[2:3], 3, v11
	v_lshrrev_b32_e32 v10, 2, v10
	s_or_b64 vcc, s[2:3], vcc
	v_addc_co_u32_e32 v10, vcc, 0, v10, vcc
	v_cmp_gt_i32_e32 vcc, 31, v12
	v_lshrrev_b32_e32 v14, 16, v7
	v_cndmask_b32_e32 v13, v2, v10, vcc
	v_mul_f16_sdwa v10, v69, v14 dst_sel:DWORD dst_unused:UNUSED_PAD src0_sel:WORD_1 src1_sel:DWORD
	v_fma_f16 v10, v69, v7, v10
	v_cvt_f32_f16_e32 v10, v10
	v_cmp_ne_u32_e32 vcc, 0, v8
	v_cndmask_b32_e64 v8, 0, 1, vcc
	v_lshl_or_b32 v8, v8, 9, v2
	v_cvt_f64_f32_e32 v[10:11], v10
	v_cmp_eq_u32_e32 vcc, s14, v12
	v_cndmask_b32_e32 v8, v13, v8, vcc
	v_lshrrev_b32_e32 v9, 16, v9
	v_and_or_b32 v12, v9, s15, v8
	v_mul_f64 v[8:9], v[10:11], s[12:13]
	v_and_b32_e32 v6, 0xffff, v6
	v_add_co_u32_e32 v4, vcc, s4, v4
	v_lshl_or_b32 v6, v12, 16, v6
	v_addc_co_u32_e32 v5, vcc, v5, v0, vcc
	global_store_dword v[4:5], v6, off
	v_and_or_b32 v6, v9, s11, v8
	v_cmp_ne_u32_e32 vcc, 0, v6
	v_cndmask_b32_e64 v6, 0, 1, vcc
	v_lshrrev_b32_e32 v8, 8, v9
	v_bfe_u32 v10, v9, 20, 11
	v_and_or_b32 v8, v8, s10, v6
	v_sub_u32_e32 v11, 0x3f1, v10
	v_or_b32_e32 v6, 0x1000, v8
	v_med3_i32 v11, v11, 0, 13
	v_lshrrev_b32_e32 v12, v11, v6
	v_lshlrev_b32_e32 v11, v11, v12
	v_mul_f16_sdwa v7, v69, v7 dst_sel:DWORD dst_unused:UNUSED_PAD src0_sel:WORD_1 src1_sel:DWORD
	v_cmp_ne_u32_e32 vcc, v11, v6
	v_fma_f16 v7, v69, v14, -v7
	v_cndmask_b32_e64 v6, 0, 1, vcc
	v_add_u32_e32 v10, 0xfffffc10, v10
	v_cvt_f32_f16_e32 v7, v7
	v_or_b32_e32 v6, v12, v6
	v_lshl_or_b32 v11, v10, 12, v8
	v_cmp_gt_i32_e32 vcc, 1, v10
	v_cndmask_b32_e32 v6, v11, v6, vcc
	v_and_b32_e32 v11, 7, v6
	v_cmp_lt_i32_e32 vcc, 5, v11
	v_cmp_eq_u32_e64 s[2:3], 3, v11
	v_lshrrev_b32_e32 v11, 2, v6
	v_cvt_f64_f32_e32 v[6:7], v7
	s_or_b64 vcc, s[2:3], vcc
	v_addc_co_u32_e32 v11, vcc, 0, v11, vcc
	v_mul_f64 v[6:7], v[6:7], s[12:13]
	v_cmp_gt_i32_e32 vcc, 31, v10
	v_cndmask_b32_e32 v11, v2, v11, vcc
	v_cmp_ne_u32_e32 vcc, 0, v8
	v_cndmask_b32_e64 v8, 0, 1, vcc
	v_lshl_or_b32 v8, v8, 9, v2
	v_cmp_eq_u32_e32 vcc, s14, v10
	v_cndmask_b32_e32 v8, v11, v8, vcc
	v_and_or_b32 v6, v7, s11, v6
	v_lshrrev_b32_e32 v9, 16, v9
	v_cmp_ne_u32_e32 vcc, 0, v6
	v_and_or_b32 v12, v9, s15, v8
	v_cndmask_b32_e64 v6, 0, 1, vcc
	v_lshrrev_b32_e32 v8, 8, v7
	v_bfe_u32 v9, v7, 20, 11
	v_and_or_b32 v6, v8, s10, v6
	v_sub_u32_e32 v10, 0x3f1, v9
	v_or_b32_e32 v8, 0x1000, v6
	v_med3_i32 v10, v10, 0, 13
	v_lshrrev_b32_e32 v11, v10, v8
	v_lshlrev_b32_e32 v10, v10, v11
	v_cmp_ne_u32_e32 vcc, v10, v8
	v_cndmask_b32_e64 v8, 0, 1, vcc
	v_add_u32_e32 v13, 0xfffffc10, v9
	v_or_b32_e32 v8, v11, v8
	v_lshl_or_b32 v9, v13, 12, v6
	v_cmp_gt_i32_e32 vcc, 1, v13
	v_cndmask_b32_e32 v8, v9, v8, vcc
	v_and_b32_e32 v9, 7, v8
	v_cmp_lt_i32_e32 vcc, 5, v9
	v_cmp_eq_u32_e64 s[2:3], 3, v9
	v_lshrrev_b32_e32 v10, 2, v8
	ds_read2_b32 v[8:9], v3 offset0:96 offset1:140
	s_or_b64 vcc, s[2:3], vcc
	v_addc_co_u32_e32 v3, vcc, 0, v10, vcc
	v_cmp_gt_i32_e32 vcc, 31, v13
	s_waitcnt lgkmcnt(0)
	v_lshrrev_b32_e32 v14, 16, v8
	v_mul_f16_sdwa v10, v67, v14 dst_sel:DWORD dst_unused:UNUSED_PAD src0_sel:WORD_1 src1_sel:DWORD
	v_fma_f16 v10, v67, v8, v10
	v_cvt_f32_f16_e32 v10, v10
	v_cndmask_b32_e32 v3, v2, v3, vcc
	v_cmp_ne_u32_e32 vcc, 0, v6
	v_cndmask_b32_e64 v6, 0, 1, vcc
	v_cvt_f64_f32_e32 v[10:11], v10
	v_lshl_or_b32 v6, v6, 9, v2
	v_cmp_eq_u32_e32 vcc, s14, v13
	v_cndmask_b32_e32 v3, v3, v6, vcc
	v_lshrrev_b32_e32 v6, 16, v7
	v_and_or_b32 v3, v6, s15, v3
	v_mul_f64 v[6:7], v[10:11], s[12:13]
	v_and_b32_e32 v10, 0xffff, v12
	v_lshl_or_b32 v10, v3, 16, v10
	v_add_co_u32_e32 v3, vcc, s6, v4
	v_addc_co_u32_e32 v4, vcc, v5, v1, vcc
	global_store_dword v[3:4], v10, off
	v_and_or_b32 v5, v7, s11, v6
	v_cmp_ne_u32_e32 vcc, 0, v5
	v_cndmask_b32_e64 v5, 0, 1, vcc
	v_lshrrev_b32_e32 v6, 8, v7
	v_and_or_b32 v10, v6, s10, v5
	v_bfe_u32 v6, v7, 20, 11
	v_sub_u32_e32 v11, 0x3f1, v6
	v_or_b32_e32 v5, 0x1000, v10
	v_med3_i32 v11, v11, 0, 13
	v_lshrrev_b32_e32 v12, v11, v5
	v_lshlrev_b32_e32 v11, v11, v12
	v_mul_f16_sdwa v8, v67, v8 dst_sel:DWORD dst_unused:UNUSED_PAD src0_sel:WORD_1 src1_sel:DWORD
	v_cmp_ne_u32_e32 vcc, v11, v5
	v_fma_f16 v8, v67, v14, -v8
	v_cndmask_b32_e64 v5, 0, 1, vcc
	v_add_u32_e32 v11, 0xfffffc10, v6
	v_cvt_f32_f16_e32 v8, v8
	v_or_b32_e32 v5, v12, v5
	v_lshl_or_b32 v6, v11, 12, v10
	v_cmp_gt_i32_e32 vcc, 1, v11
	v_cndmask_b32_e32 v5, v6, v5, vcc
	v_and_b32_e32 v6, 7, v5
	v_cmp_lt_i32_e32 vcc, 5, v6
	v_cmp_eq_u32_e64 s[2:3], 3, v6
	v_lshrrev_b32_e32 v12, 2, v5
	v_cvt_f64_f32_e32 v[5:6], v8
	s_or_b64 vcc, s[2:3], vcc
	v_addc_co_u32_e32 v8, vcc, 0, v12, vcc
	v_mul_f64 v[5:6], v[5:6], s[12:13]
	v_cmp_gt_i32_e32 vcc, 31, v11
	v_cndmask_b32_e32 v8, v2, v8, vcc
	v_cmp_ne_u32_e32 vcc, 0, v10
	v_cndmask_b32_e64 v10, 0, 1, vcc
	v_lshl_or_b32 v10, v10, 9, v2
	v_cmp_eq_u32_e32 vcc, s14, v11
	v_cndmask_b32_e32 v8, v8, v10, vcc
	v_and_or_b32 v5, v6, s11, v5
	v_lshrrev_b32_e32 v7, 16, v7
	v_cmp_ne_u32_e32 vcc, 0, v5
	v_and_or_b32 v12, v7, s15, v8
	v_cndmask_b32_e64 v5, 0, 1, vcc
	v_lshrrev_b32_e32 v7, 8, v6
	v_bfe_u32 v8, v6, 20, 11
	v_and_or_b32 v5, v7, s10, v5
	v_sub_u32_e32 v10, 0x3f1, v8
	v_or_b32_e32 v7, 0x1000, v5
	v_med3_i32 v10, v10, 0, 13
	v_lshrrev_b32_e32 v11, v10, v7
	v_lshlrev_b32_e32 v10, v10, v11
	v_cmp_ne_u32_e32 vcc, v10, v7
	v_cndmask_b32_e64 v7, 0, 1, vcc
	v_add_u32_e32 v13, 0xfffffc10, v8
	v_or_b32_e32 v7, v11, v7
	v_lshl_or_b32 v8, v13, 12, v5
	v_cmp_gt_i32_e32 vcc, 1, v13
	v_cndmask_b32_e32 v7, v8, v7, vcc
	v_and_b32_e32 v8, 7, v7
	v_lshrrev_b32_e32 v10, 2, v7
	v_add_u32_e32 v7, 0xc00, v63
	v_cmp_lt_i32_e32 vcc, 5, v8
	v_cmp_eq_u32_e64 s[2:3], 3, v8
	ds_read2_b32 v[7:8], v7 offset0:46 offset1:90
	s_or_b64 vcc, s[2:3], vcc
	v_addc_co_u32_e32 v10, vcc, 0, v10, vcc
	v_cmp_gt_i32_e32 vcc, 31, v13
	s_waitcnt lgkmcnt(0)
	v_lshrrev_b32_e32 v15, 16, v7
	v_cndmask_b32_e32 v14, v2, v10, vcc
	v_mul_f16_sdwa v10, v66, v15 dst_sel:DWORD dst_unused:UNUSED_PAD src0_sel:WORD_1 src1_sel:DWORD
	v_fma_f16 v10, v66, v7, v10
	v_cvt_f32_f16_e32 v10, v10
	v_cmp_ne_u32_e32 vcc, 0, v5
	v_cndmask_b32_e64 v5, 0, 1, vcc
	v_lshl_or_b32 v5, v5, 9, v2
	v_cvt_f64_f32_e32 v[10:11], v10
	v_cmp_eq_u32_e32 vcc, s14, v13
	v_cndmask_b32_e32 v5, v14, v5, vcc
	v_lshrrev_b32_e32 v6, 16, v6
	v_and_or_b32 v13, v6, s15, v5
	v_mul_f64 v[5:6], v[10:11], s[12:13]
	v_add_co_u32_e32 v3, vcc, s4, v3
	v_and_b32_e32 v10, 0xffff, v12
	v_addc_co_u32_e32 v4, vcc, v4, v0, vcc
	v_lshl_or_b32 v10, v13, 16, v10
	global_store_dword v[3:4], v10, off
	v_and_or_b32 v5, v6, s11, v5
	v_cmp_ne_u32_e32 vcc, 0, v5
	v_cndmask_b32_e64 v5, 0, 1, vcc
	v_lshrrev_b32_e32 v10, 8, v6
	v_bfe_u32 v11, v6, 20, 11
	v_and_or_b32 v5, v10, s10, v5
	v_sub_u32_e32 v12, 0x3f1, v11
	v_or_b32_e32 v10, 0x1000, v5
	v_med3_i32 v12, v12, 0, 13
	v_lshrrev_b32_e32 v13, v12, v10
	v_lshlrev_b32_e32 v12, v12, v13
	v_mul_f16_sdwa v7, v66, v7 dst_sel:DWORD dst_unused:UNUSED_PAD src0_sel:WORD_1 src1_sel:DWORD
	v_cmp_ne_u32_e32 vcc, v12, v10
	v_fma_f16 v7, v66, v15, -v7
	v_cndmask_b32_e64 v10, 0, 1, vcc
	v_add_u32_e32 v12, 0xfffffc10, v11
	v_cvt_f32_f16_e32 v7, v7
	v_or_b32_e32 v10, v13, v10
	v_lshl_or_b32 v11, v12, 12, v5
	v_cmp_gt_i32_e32 vcc, 1, v12
	v_cndmask_b32_e32 v10, v11, v10, vcc
	v_and_b32_e32 v11, 7, v10
	v_cmp_lt_i32_e32 vcc, 5, v11
	v_cmp_eq_u32_e64 s[2:3], 3, v11
	v_lshrrev_b32_e32 v13, 2, v10
	v_cvt_f64_f32_e32 v[10:11], v7
	s_or_b64 vcc, s[2:3], vcc
	v_addc_co_u32_e32 v7, vcc, 0, v13, vcc
	v_mul_f64 v[10:11], v[10:11], s[12:13]
	v_cmp_gt_i32_e32 vcc, 31, v12
	v_cndmask_b32_e32 v7, v2, v7, vcc
	v_cmp_ne_u32_e32 vcc, 0, v5
	v_cndmask_b32_e64 v5, 0, 1, vcc
	v_lshl_or_b32 v5, v5, 9, v2
	v_cmp_eq_u32_e32 vcc, s14, v12
	v_cndmask_b32_e32 v5, v7, v5, vcc
	v_lshrrev_b32_e32 v6, 16, v6
	v_and_or_b32 v7, v6, s15, v5
	v_and_or_b32 v5, v11, s11, v10
	v_cmp_ne_u32_e32 vcc, 0, v5
	v_cndmask_b32_e64 v5, 0, 1, vcc
	v_lshrrev_b32_e32 v6, 8, v11
	v_bfe_u32 v10, v11, 20, 11
	v_and_or_b32 v5, v6, s10, v5
	v_sub_u32_e32 v12, 0x3f1, v10
	v_or_b32_e32 v6, 0x1000, v5
	v_med3_i32 v12, v12, 0, 13
	v_lshrrev_b32_e32 v13, v12, v6
	v_lshlrev_b32_e32 v12, v12, v13
	v_cmp_ne_u32_e32 vcc, v12, v6
	v_cndmask_b32_e64 v6, 0, 1, vcc
	v_add_u32_e32 v10, 0xfffffc10, v10
	v_or_b32_e32 v6, v13, v6
	v_lshl_or_b32 v12, v10, 12, v5
	v_cmp_gt_i32_e32 vcc, 1, v10
	v_cndmask_b32_e32 v6, v12, v6, vcc
	v_and_b32_e32 v12, 7, v6
	v_cmp_lt_i32_e32 vcc, 5, v12
	v_cmp_eq_u32_e64 s[2:3], 3, v12
	v_lshrrev_b32_e32 v6, 2, v6
	s_or_b64 vcc, s[2:3], vcc
	v_addc_co_u32_e32 v6, vcc, 0, v6, vcc
	v_cmp_gt_i32_e32 vcc, 31, v10
	v_lshrrev_b32_e32 v13, 16, v9
	v_cndmask_b32_e32 v12, v2, v6, vcc
	v_mul_f16_sdwa v6, v65, v13 dst_sel:DWORD dst_unused:UNUSED_PAD src0_sel:WORD_1 src1_sel:DWORD
	v_fma_f16 v6, v65, v9, v6
	v_cvt_f32_f16_e32 v6, v6
	v_cmp_ne_u32_e32 vcc, 0, v5
	v_cndmask_b32_e64 v5, 0, 1, vcc
	v_lshl_or_b32 v14, v5, 9, v2
	v_cvt_f64_f32_e32 v[5:6], v6
	v_cmp_eq_u32_e32 vcc, s14, v10
	v_cndmask_b32_e32 v10, v12, v14, vcc
	v_lshrrev_b32_e32 v11, 16, v11
	v_mul_f64 v[5:6], v[5:6], s[12:13]
	v_add_co_u32_e32 v3, vcc, s6, v3
	v_and_or_b32 v10, v11, s15, v10
	v_and_b32_e32 v7, 0xffff, v7
	v_addc_co_u32_e32 v4, vcc, v4, v1, vcc
	v_lshl_or_b32 v7, v10, 16, v7
	v_and_or_b32 v5, v6, s11, v5
	v_cmp_ne_u32_e32 vcc, 0, v5
	global_store_dword v[3:4], v7, off
	v_cndmask_b32_e64 v5, 0, 1, vcc
	v_lshrrev_b32_e32 v7, 8, v6
	v_bfe_u32 v10, v6, 20, 11
	v_and_or_b32 v5, v7, s10, v5
	v_sub_u32_e32 v11, 0x3f1, v10
	v_or_b32_e32 v7, 0x1000, v5
	v_med3_i32 v11, v11, 0, 13
	v_lshrrev_b32_e32 v12, v11, v7
	v_lshlrev_b32_e32 v11, v11, v12
	v_mul_f16_sdwa v9, v65, v9 dst_sel:DWORD dst_unused:UNUSED_PAD src0_sel:WORD_1 src1_sel:DWORD
	v_cmp_ne_u32_e32 vcc, v11, v7
	v_fma_f16 v9, v65, v13, -v9
	v_cndmask_b32_e64 v7, 0, 1, vcc
	v_add_u32_e32 v11, 0xfffffc10, v10
	v_cvt_f32_f16_e32 v9, v9
	v_or_b32_e32 v7, v12, v7
	v_lshl_or_b32 v10, v11, 12, v5
	v_cmp_gt_i32_e32 vcc, 1, v11
	v_cndmask_b32_e32 v7, v10, v7, vcc
	v_and_b32_e32 v10, 7, v7
	v_cmp_lt_i32_e32 vcc, 5, v10
	v_cmp_eq_u32_e64 s[2:3], 3, v10
	v_cvt_f64_f32_e32 v[9:10], v9
	v_lshrrev_b32_e32 v7, 2, v7
	s_or_b64 vcc, s[2:3], vcc
	v_addc_co_u32_e32 v7, vcc, 0, v7, vcc
	v_mul_f64 v[9:10], v[9:10], s[12:13]
	v_cmp_gt_i32_e32 vcc, 31, v11
	v_cndmask_b32_e32 v7, v2, v7, vcc
	v_cmp_ne_u32_e32 vcc, 0, v5
	v_cndmask_b32_e64 v5, 0, 1, vcc
	v_lshl_or_b32 v5, v5, 9, v2
	v_cmp_eq_u32_e32 vcc, s14, v11
	v_cndmask_b32_e32 v5, v7, v5, vcc
	v_lshrrev_b32_e32 v6, 16, v6
	v_and_or_b32 v7, v6, s15, v5
	v_and_or_b32 v5, v10, s11, v9
	v_cmp_ne_u32_e32 vcc, 0, v5
	v_cndmask_b32_e64 v5, 0, 1, vcc
	v_lshrrev_b32_e32 v6, 8, v10
	v_bfe_u32 v9, v10, 20, 11
	v_and_or_b32 v5, v6, s10, v5
	v_sub_u32_e32 v11, 0x3f1, v9
	v_or_b32_e32 v6, 0x1000, v5
	v_med3_i32 v11, v11, 0, 13
	v_lshrrev_b32_e32 v12, v11, v6
	v_lshlrev_b32_e32 v11, v11, v12
	v_cmp_ne_u32_e32 vcc, v11, v6
	v_cndmask_b32_e64 v6, 0, 1, vcc
	v_add_u32_e32 v9, 0xfffffc10, v9
	v_or_b32_e32 v6, v12, v6
	v_lshl_or_b32 v11, v9, 12, v5
	v_cmp_gt_i32_e32 vcc, 1, v9
	v_cndmask_b32_e32 v6, v11, v6, vcc
	v_and_b32_e32 v11, 7, v6
	v_cmp_lt_i32_e32 vcc, 5, v11
	v_cmp_eq_u32_e64 s[2:3], 3, v11
	v_lshrrev_b32_e32 v6, 2, v6
	s_or_b64 vcc, s[2:3], vcc
	v_addc_co_u32_e32 v6, vcc, 0, v6, vcc
	v_cmp_gt_i32_e32 vcc, 31, v9
	v_lshrrev_b32_e32 v12, 16, v8
	v_cndmask_b32_e32 v11, v2, v6, vcc
	v_mul_f16_sdwa v6, v64, v12 dst_sel:DWORD dst_unused:UNUSED_PAD src0_sel:WORD_1 src1_sel:DWORD
	v_fma_f16 v6, v64, v8, v6
	v_cvt_f32_f16_e32 v6, v6
	v_cmp_ne_u32_e32 vcc, 0, v5
	v_cndmask_b32_e64 v5, 0, 1, vcc
	v_lshl_or_b32 v13, v5, 9, v2
	v_cvt_f64_f32_e32 v[5:6], v6
	v_cmp_eq_u32_e32 vcc, s14, v9
	v_cndmask_b32_e32 v9, v11, v13, vcc
	v_lshrrev_b32_e32 v10, 16, v10
	v_mul_f64 v[5:6], v[5:6], s[12:13]
	v_add_co_u32_e32 v3, vcc, s4, v3
	v_and_or_b32 v9, v10, s15, v9
	v_and_b32_e32 v7, 0xffff, v7
	v_addc_co_u32_e32 v4, vcc, v4, v0, vcc
	v_lshl_or_b32 v7, v9, 16, v7
	v_and_or_b32 v0, v6, s11, v5
	v_cmp_ne_u32_e32 vcc, 0, v0
	global_store_dword v[3:4], v7, off
	v_cndmask_b32_e64 v0, 0, 1, vcc
	v_lshrrev_b32_e32 v5, 8, v6
	v_bfe_u32 v7, v6, 20, 11
	v_and_or_b32 v0, v5, s10, v0
	v_sub_u32_e32 v9, 0x3f1, v7
	v_or_b32_e32 v5, 0x1000, v0
	v_med3_i32 v9, v9, 0, 13
	v_lshrrev_b32_e32 v10, v9, v5
	v_lshlrev_b32_e32 v9, v9, v10
	v_mul_f16_sdwa v8, v64, v8 dst_sel:DWORD dst_unused:UNUSED_PAD src0_sel:WORD_1 src1_sel:DWORD
	v_cmp_ne_u32_e32 vcc, v9, v5
	v_fma_f16 v8, v64, v12, -v8
	v_cndmask_b32_e64 v5, 0, 1, vcc
	v_add_u32_e32 v9, 0xfffffc10, v7
	v_cvt_f32_f16_e32 v8, v8
	v_or_b32_e32 v5, v10, v5
	v_lshl_or_b32 v7, v9, 12, v0
	v_cmp_gt_i32_e32 vcc, 1, v9
	v_cndmask_b32_e32 v5, v7, v5, vcc
	v_and_b32_e32 v7, 7, v5
	v_cmp_lt_i32_e32 vcc, 5, v7
	v_cmp_eq_u32_e64 s[2:3], 3, v7
	v_cvt_f64_f32_e32 v[7:8], v8
	v_lshrrev_b32_e32 v5, 2, v5
	s_or_b64 vcc, s[2:3], vcc
	v_addc_co_u32_e32 v5, vcc, 0, v5, vcc
	v_mul_f64 v[7:8], v[7:8], s[12:13]
	v_cmp_gt_i32_e32 vcc, 31, v9
	v_cndmask_b32_e32 v5, v2, v5, vcc
	v_cmp_ne_u32_e32 vcc, 0, v0
	v_cndmask_b32_e64 v0, 0, 1, vcc
	v_lshl_or_b32 v0, v0, 9, v2
	v_cmp_eq_u32_e32 vcc, s14, v9
	v_cndmask_b32_e32 v0, v5, v0, vcc
	v_lshrrev_b32_e32 v5, 16, v6
	v_and_or_b32 v0, v5, s15, v0
	v_and_or_b32 v5, v8, s11, v7
	v_cmp_ne_u32_e32 vcc, 0, v5
	v_cndmask_b32_e64 v5, 0, 1, vcc
	v_lshrrev_b32_e32 v6, 8, v8
	v_bfe_u32 v7, v8, 20, 11
	v_and_or_b32 v5, v6, s10, v5
	v_sub_u32_e32 v9, 0x3f1, v7
	v_or_b32_e32 v6, 0x1000, v5
	v_med3_i32 v9, v9, 0, 13
	v_lshrrev_b32_e32 v10, v9, v6
	v_lshlrev_b32_e32 v9, v9, v10
	v_cmp_ne_u32_e32 vcc, v9, v6
	v_cndmask_b32_e64 v6, 0, 1, vcc
	v_add_u32_e32 v7, 0xfffffc10, v7
	v_or_b32_e32 v6, v10, v6
	v_lshl_or_b32 v9, v7, 12, v5
	v_cmp_gt_i32_e32 vcc, 1, v7
	v_cndmask_b32_e32 v6, v9, v6, vcc
	v_and_b32_e32 v9, 7, v6
	v_cmp_lt_i32_e32 vcc, 5, v9
	v_cmp_eq_u32_e64 s[2:3], 3, v9
	v_lshrrev_b32_e32 v6, 2, v6
	s_or_b64 vcc, s[2:3], vcc
	v_addc_co_u32_e32 v6, vcc, 0, v6, vcc
	v_cmp_gt_i32_e32 vcc, 31, v7
	v_cndmask_b32_e32 v6, v2, v6, vcc
	v_cmp_ne_u32_e32 vcc, 0, v5
	v_cndmask_b32_e64 v5, 0, 1, vcc
	v_lshl_or_b32 v5, v5, 9, v2
	v_cmp_eq_u32_e32 vcc, s14, v7
	v_cndmask_b32_e32 v5, v6, v5, vcc
	v_lshrrev_b32_e32 v6, 16, v8
	v_and_or_b32 v5, v6, s15, v5
	v_and_b32_e32 v0, 0xffff, v0
	v_lshl_or_b32 v5, v5, 16, v0
	v_add_co_u32_e32 v0, vcc, s6, v3
	v_addc_co_u32_e32 v1, vcc, v4, v1, vcc
	global_store_dword v[0:1], v5, off
	s_and_b64 exec, exec, s[0:1]
	s_cbranch_execz .LBB0_31
; %bb.30:
	global_load_dword v3, v[28:29], off offset:1760
	ds_read_b32 v4, v63 offset:1760
	ds_read_b32 v7, v63 offset:3608
	v_mov_b32_e32 v8, s5
	v_add_co_u32_e32 v0, vcc, s4, v0
	s_waitcnt lgkmcnt(1)
	v_lshrrev_b32_e32 v5, 16, v4
	v_addc_co_u32_e32 v1, vcc, v1, v8, vcc
	s_waitcnt vmcnt(0)
	v_mul_f16_sdwa v6, v5, v3 dst_sel:DWORD dst_unused:UNUSED_PAD src0_sel:DWORD src1_sel:WORD_1
	v_fma_f16 v6, v4, v3, v6
	v_mul_f16_sdwa v4, v4, v3 dst_sel:DWORD dst_unused:UNUSED_PAD src0_sel:DWORD src1_sel:WORD_1
	v_cvt_f32_f16_e32 v6, v6
	v_fma_f16 v3, v3, v5, -v4
	v_cvt_f32_f16_e32 v5, v3
	v_cvt_f64_f32_e32 v[3:4], v6
	v_cvt_f64_f32_e32 v[5:6], v5
	v_mul_f64 v[3:4], v[3:4], s[12:13]
	v_mul_f64 v[5:6], v[5:6], s[12:13]
	v_and_or_b32 v3, v4, s11, v3
	v_cmp_ne_u32_e32 vcc, 0, v3
	v_and_or_b32 v5, v6, s11, v5
	v_lshrrev_b32_e32 v8, 8, v4
	v_bfe_u32 v9, v4, 20, 11
	v_cndmask_b32_e64 v3, 0, 1, vcc
	v_cmp_ne_u32_e32 vcc, 0, v5
	v_lshrrev_b32_e32 v10, 8, v6
	v_bfe_u32 v11, v6, 20, 11
	v_sub_u32_e32 v12, 0x3f1, v9
	v_cndmask_b32_e64 v5, 0, 1, vcc
	v_and_or_b32 v3, v8, s10, v3
	v_sub_u32_e32 v13, 0x3f1, v11
	v_med3_i32 v8, v12, 0, 13
	v_and_or_b32 v5, v10, s10, v5
	v_or_b32_e32 v12, 0x1000, v3
	v_add_u32_e32 v9, 0xfffffc10, v9
	v_med3_i32 v10, v13, 0, 13
	v_cmp_ne_u32_e32 vcc, 0, v3
	v_or_b32_e32 v14, 0x1000, v5
	v_lshrrev_b32_e32 v16, v8, v12
	v_add_u32_e32 v11, 0xfffffc10, v11
	v_lshl_or_b32 v13, v9, 12, v3
	v_cndmask_b32_e64 v3, 0, 1, vcc
	v_cmp_ne_u32_e32 vcc, 0, v5
	v_lshrrev_b32_e32 v17, v10, v14
	v_lshlrev_b32_e32 v8, v8, v16
	v_lshl_or_b32 v15, v11, 12, v5
	v_cndmask_b32_e64 v5, 0, 1, vcc
	v_lshlrev_b32_e32 v10, v10, v17
	v_cmp_ne_u32_e32 vcc, v8, v12
	v_cndmask_b32_e64 v8, 0, 1, vcc
	v_cmp_ne_u32_e32 vcc, v10, v14
	v_cndmask_b32_e64 v10, 0, 1, vcc
	v_or_b32_e32 v8, v16, v8
	v_cmp_gt_i32_e32 vcc, 1, v9
	v_cndmask_b32_e32 v8, v13, v8, vcc
	v_or_b32_e32 v10, v17, v10
	v_cmp_gt_i32_e32 vcc, 1, v11
	v_and_b32_e32 v12, 7, v8
	v_cndmask_b32_e32 v10, v15, v10, vcc
	v_cmp_lt_i32_e32 vcc, 5, v12
	v_cmp_eq_u32_e64 s[0:1], 3, v12
	v_lshrrev_b32_e32 v8, 2, v8
	v_and_b32_e32 v13, 7, v10
	s_or_b64 vcc, s[0:1], vcc
	v_cmp_lt_i32_e64 s[2:3], 5, v13
	v_cmp_eq_u32_e64 s[4:5], 3, v13
	v_addc_co_u32_e32 v8, vcc, 0, v8, vcc
	v_lshrrev_b32_e32 v10, 2, v10
	s_or_b64 vcc, s[4:5], s[2:3]
	v_addc_co_u32_e32 v10, vcc, 0, v10, vcc
	v_cmp_gt_i32_e32 vcc, 31, v9
	v_cndmask_b32_e32 v8, v2, v8, vcc
	v_cmp_gt_i32_e32 vcc, 31, v11
	v_lshl_or_b32 v3, v3, 9, v2
	v_cndmask_b32_e32 v10, v2, v10, vcc
	v_cmp_eq_u32_e32 vcc, s14, v9
	v_lshrrev_b32_e32 v4, 16, v4
	v_lshl_or_b32 v5, v5, 9, v2
	v_cndmask_b32_e32 v3, v8, v3, vcc
	v_cmp_eq_u32_e32 vcc, s14, v11
	v_lshrrev_b32_e32 v6, 16, v6
	v_cndmask_b32_e32 v5, v10, v5, vcc
	v_and_or_b32 v3, v4, s15, v3
	v_and_or_b32 v4, v6, s15, v5
	v_and_b32_e32 v3, 0xffff, v3
	v_lshl_or_b32 v3, v4, 16, v3
	global_store_dword v[0:1], v3, off
	global_load_dword v3, v[28:29], off offset:3608
	s_waitcnt lgkmcnt(0)
	v_lshrrev_b32_e32 v4, 16, v7
	s_waitcnt vmcnt(0)
	v_mul_f16_sdwa v5, v4, v3 dst_sel:DWORD dst_unused:UNUSED_PAD src0_sel:DWORD src1_sel:WORD_1
	v_fma_f16 v5, v7, v3, v5
	v_mul_f16_sdwa v6, v7, v3 dst_sel:DWORD dst_unused:UNUSED_PAD src0_sel:DWORD src1_sel:WORD_1
	v_cvt_f32_f16_e32 v5, v5
	v_fma_f16 v3, v3, v4, -v6
	v_cvt_f32_f16_e32 v6, v3
	v_mov_b32_e32 v7, s7
	v_cvt_f64_f32_e32 v[3:4], v5
	v_cvt_f64_f32_e32 v[5:6], v6
	v_mul_f64 v[3:4], v[3:4], s[12:13]
	v_mul_f64 v[5:6], v[5:6], s[12:13]
	v_and_or_b32 v3, v4, s11, v3
	v_cmp_ne_u32_e32 vcc, 0, v3
	v_and_or_b32 v5, v6, s11, v5
	v_lshrrev_b32_e32 v8, 8, v4
	v_bfe_u32 v9, v4, 20, 11
	v_cndmask_b32_e64 v3, 0, 1, vcc
	v_cmp_ne_u32_e32 vcc, 0, v5
	v_lshrrev_b32_e32 v10, 8, v6
	v_bfe_u32 v11, v6, 20, 11
	v_sub_u32_e32 v12, 0x3f1, v9
	v_cndmask_b32_e64 v5, 0, 1, vcc
	v_and_or_b32 v3, v8, s10, v3
	v_sub_u32_e32 v13, 0x3f1, v11
	v_med3_i32 v8, v12, 0, 13
	v_and_or_b32 v5, v10, s10, v5
	v_or_b32_e32 v12, 0x1000, v3
	v_add_u32_e32 v9, 0xfffffc10, v9
	v_med3_i32 v10, v13, 0, 13
	v_cmp_ne_u32_e32 vcc, 0, v3
	v_or_b32_e32 v14, 0x1000, v5
	v_lshrrev_b32_e32 v16, v8, v12
	v_add_u32_e32 v11, 0xfffffc10, v11
	v_lshl_or_b32 v13, v9, 12, v3
	v_cndmask_b32_e64 v3, 0, 1, vcc
	v_cmp_ne_u32_e32 vcc, 0, v5
	v_lshrrev_b32_e32 v17, v10, v14
	v_lshlrev_b32_e32 v8, v8, v16
	v_lshl_or_b32 v15, v11, 12, v5
	v_cndmask_b32_e64 v5, 0, 1, vcc
	v_lshlrev_b32_e32 v10, v10, v17
	v_cmp_ne_u32_e32 vcc, v8, v12
	v_cndmask_b32_e64 v8, 0, 1, vcc
	v_cmp_ne_u32_e32 vcc, v10, v14
	v_cndmask_b32_e64 v10, 0, 1, vcc
	v_or_b32_e32 v8, v16, v8
	v_cmp_gt_i32_e32 vcc, 1, v9
	v_cndmask_b32_e32 v8, v13, v8, vcc
	v_or_b32_e32 v10, v17, v10
	v_cmp_gt_i32_e32 vcc, 1, v11
	v_and_b32_e32 v12, 7, v8
	v_cndmask_b32_e32 v10, v15, v10, vcc
	v_cmp_lt_i32_e32 vcc, 5, v12
	v_cmp_eq_u32_e64 s[0:1], 3, v12
	v_lshrrev_b32_e32 v8, 2, v8
	v_and_b32_e32 v13, 7, v10
	s_or_b64 vcc, s[0:1], vcc
	v_cmp_lt_i32_e64 s[2:3], 5, v13
	v_cmp_eq_u32_e64 s[4:5], 3, v13
	v_addc_co_u32_e32 v8, vcc, 0, v8, vcc
	v_lshrrev_b32_e32 v10, 2, v10
	s_or_b64 vcc, s[4:5], s[2:3]
	v_addc_co_u32_e32 v10, vcc, 0, v10, vcc
	v_cmp_gt_i32_e32 vcc, 31, v9
	v_cndmask_b32_e32 v8, v2, v8, vcc
	v_cmp_gt_i32_e32 vcc, 31, v11
	v_lshl_or_b32 v3, v3, 9, v2
	v_lshl_or_b32 v5, v5, 9, v2
	v_cndmask_b32_e32 v2, v2, v10, vcc
	v_cmp_eq_u32_e32 vcc, s14, v9
	v_lshrrev_b32_e32 v4, 16, v4
	v_cndmask_b32_e32 v3, v8, v3, vcc
	v_cmp_eq_u32_e32 vcc, s14, v11
	v_lshrrev_b32_e32 v6, 16, v6
	v_cndmask_b32_e32 v2, v2, v5, vcc
	v_and_or_b32 v3, v4, s15, v3
	v_and_or_b32 v2, v6, s15, v2
	v_and_b32_e32 v3, 0xffff, v3
	v_add_co_u32_e32 v0, vcc, s6, v0
	v_lshl_or_b32 v2, v2, 16, v3
	v_addc_co_u32_e32 v1, vcc, v1, v7, vcc
	global_store_dword v[0:1], v2, off
.LBB0_31:
	s_endpgm
	.section	.rodata,"a",@progbits
	.p2align	6, 0x0
	.amdhsa_kernel bluestein_single_back_len924_dim1_half_op_CI_CI
		.amdhsa_group_segment_fixed_size 3696
		.amdhsa_private_segment_fixed_size 0
		.amdhsa_kernarg_size 104
		.amdhsa_user_sgpr_count 6
		.amdhsa_user_sgpr_private_segment_buffer 1
		.amdhsa_user_sgpr_dispatch_ptr 0
		.amdhsa_user_sgpr_queue_ptr 0
		.amdhsa_user_sgpr_kernarg_segment_ptr 1
		.amdhsa_user_sgpr_dispatch_id 0
		.amdhsa_user_sgpr_flat_scratch_init 0
		.amdhsa_user_sgpr_private_segment_size 0
		.amdhsa_uses_dynamic_stack 0
		.amdhsa_system_sgpr_private_segment_wavefront_offset 0
		.amdhsa_system_sgpr_workgroup_id_x 1
		.amdhsa_system_sgpr_workgroup_id_y 0
		.amdhsa_system_sgpr_workgroup_id_z 0
		.amdhsa_system_sgpr_workgroup_info 0
		.amdhsa_system_vgpr_workitem_id 0
		.amdhsa_next_free_vgpr 212
		.amdhsa_next_free_sgpr 27
		.amdhsa_reserve_vcc 1
		.amdhsa_reserve_flat_scratch 0
		.amdhsa_float_round_mode_32 0
		.amdhsa_float_round_mode_16_64 0
		.amdhsa_float_denorm_mode_32 3
		.amdhsa_float_denorm_mode_16_64 3
		.amdhsa_dx10_clamp 1
		.amdhsa_ieee_mode 1
		.amdhsa_fp16_overflow 0
		.amdhsa_exception_fp_ieee_invalid_op 0
		.amdhsa_exception_fp_denorm_src 0
		.amdhsa_exception_fp_ieee_div_zero 0
		.amdhsa_exception_fp_ieee_overflow 0
		.amdhsa_exception_fp_ieee_underflow 0
		.amdhsa_exception_fp_ieee_inexact 0
		.amdhsa_exception_int_div_zero 0
	.end_amdhsa_kernel
	.text
.Lfunc_end0:
	.size	bluestein_single_back_len924_dim1_half_op_CI_CI, .Lfunc_end0-bluestein_single_back_len924_dim1_half_op_CI_CI
                                        ; -- End function
	.section	.AMDGPU.csdata,"",@progbits
; Kernel info:
; codeLenInByte = 36280
; NumSgprs: 31
; NumVgprs: 212
; ScratchSize: 0
; MemoryBound: 0
; FloatMode: 240
; IeeeMode: 1
; LDSByteSize: 3696 bytes/workgroup (compile time only)
; SGPRBlocks: 3
; VGPRBlocks: 52
; NumSGPRsForWavesPerEU: 31
; NumVGPRsForWavesPerEU: 212
; Occupancy: 1
; WaveLimiterHint : 1
; COMPUTE_PGM_RSRC2:SCRATCH_EN: 0
; COMPUTE_PGM_RSRC2:USER_SGPR: 6
; COMPUTE_PGM_RSRC2:TRAP_HANDLER: 0
; COMPUTE_PGM_RSRC2:TGID_X_EN: 1
; COMPUTE_PGM_RSRC2:TGID_Y_EN: 0
; COMPUTE_PGM_RSRC2:TGID_Z_EN: 0
; COMPUTE_PGM_RSRC2:TIDIG_COMP_CNT: 0
	.type	__hip_cuid_a7db45f6494ea0d7,@object ; @__hip_cuid_a7db45f6494ea0d7
	.section	.bss,"aw",@nobits
	.globl	__hip_cuid_a7db45f6494ea0d7
__hip_cuid_a7db45f6494ea0d7:
	.byte	0                               ; 0x0
	.size	__hip_cuid_a7db45f6494ea0d7, 1

	.ident	"AMD clang version 19.0.0git (https://github.com/RadeonOpenCompute/llvm-project roc-6.4.0 25133 c7fe45cf4b819c5991fe208aaa96edf142730f1d)"
	.section	".note.GNU-stack","",@progbits
	.addrsig
	.addrsig_sym __hip_cuid_a7db45f6494ea0d7
	.amdgpu_metadata
---
amdhsa.kernels:
  - .args:
      - .actual_access:  read_only
        .address_space:  global
        .offset:         0
        .size:           8
        .value_kind:     global_buffer
      - .actual_access:  read_only
        .address_space:  global
        .offset:         8
        .size:           8
        .value_kind:     global_buffer
      - .actual_access:  read_only
        .address_space:  global
        .offset:         16
        .size:           8
        .value_kind:     global_buffer
      - .actual_access:  read_only
        .address_space:  global
        .offset:         24
        .size:           8
        .value_kind:     global_buffer
      - .actual_access:  read_only
        .address_space:  global
        .offset:         32
        .size:           8
        .value_kind:     global_buffer
      - .offset:         40
        .size:           8
        .value_kind:     by_value
      - .address_space:  global
        .offset:         48
        .size:           8
        .value_kind:     global_buffer
      - .address_space:  global
        .offset:         56
        .size:           8
        .value_kind:     global_buffer
      - .address_space:  global
        .offset:         64
        .size:           8
        .value_kind:     global_buffer
      - .address_space:  global
        .offset:         72
        .size:           8
        .value_kind:     global_buffer
      - .offset:         80
        .size:           4
        .value_kind:     by_value
      - .address_space:  global
        .offset:         88
        .size:           8
        .value_kind:     global_buffer
      - .address_space:  global
        .offset:         96
        .size:           8
        .value_kind:     global_buffer
    .group_segment_fixed_size: 3696
    .kernarg_segment_align: 8
    .kernarg_segment_size: 104
    .language:       OpenCL C
    .language_version:
      - 2
      - 0
    .max_flat_workgroup_size: 44
    .name:           bluestein_single_back_len924_dim1_half_op_CI_CI
    .private_segment_fixed_size: 0
    .sgpr_count:     31
    .sgpr_spill_count: 0
    .symbol:         bluestein_single_back_len924_dim1_half_op_CI_CI.kd
    .uniform_work_group_size: 1
    .uses_dynamic_stack: false
    .vgpr_count:     212
    .vgpr_spill_count: 0
    .wavefront_size: 64
amdhsa.target:   amdgcn-amd-amdhsa--gfx906
amdhsa.version:
  - 1
  - 2
...

	.end_amdgpu_metadata
